;; amdgpu-corpus repo=ROCm/rocFFT kind=compiled arch=gfx906 opt=O3
	.text
	.amdgcn_target "amdgcn-amd-amdhsa--gfx906"
	.amdhsa_code_object_version 6
	.protected	bluestein_single_fwd_len3200_dim1_sp_op_CI_CI ; -- Begin function bluestein_single_fwd_len3200_dim1_sp_op_CI_CI
	.globl	bluestein_single_fwd_len3200_dim1_sp_op_CI_CI
	.p2align	8
	.type	bluestein_single_fwd_len3200_dim1_sp_op_CI_CI,@function
bluestein_single_fwd_len3200_dim1_sp_op_CI_CI: ; @bluestein_single_fwd_len3200_dim1_sp_op_CI_CI
; %bb.0:
	s_load_dwordx4 s[12:15], s[4:5], 0x28
	v_mul_u32_u24_e32 v3, 0x19a, v0
	v_add_u32_sdwa v1, s6, v3 dst_sel:DWORD dst_unused:UNUSED_PAD src0_sel:DWORD src1_sel:WORD_1
	v_mov_b32_e32 v2, 0
	s_waitcnt lgkmcnt(0)
	v_cmp_gt_u64_e32 vcc, s[12:13], v[1:2]
	s_and_saveexec_b64 s[0:1], vcc
	s_cbranch_execz .LBB0_2
; %bb.1:
	s_load_dwordx4 s[8:11], s[4:5], 0x0
	s_load_dwordx4 s[20:23], s[4:5], 0x18
	s_load_dwordx2 s[12:13], s[4:5], 0x38
	s_movk_i32 s18, 0xa0
	v_mul_lo_u16_sdwa v2, v3, s18 dst_sel:DWORD dst_unused:UNUSED_PAD src0_sel:WORD_1 src1_sel:DWORD
	v_sub_u16_e32 v220, v0, v2
	s_waitcnt lgkmcnt(0)
	s_load_dwordx4 s[0:3], s[22:23], 0x0
	v_lshlrev_b32_e32 v221, 3, v220
	global_load_dwordx2 v[170:171], v221, s[8:9]
	v_or_b32_e32 v219, 0x500, v220
	v_lshlrev_b32_e32 v88, 3, v219
	s_waitcnt lgkmcnt(0)
	v_mad_u64_u32 v[152:153], s[4:5], s2, v1, 0
	s_load_dwordx4 s[4:7], s[20:21], 0x0
	v_mov_b32_e32 v216, 0x1400
	v_mov_b32_e32 v0, v153
	v_mad_u64_u32 v[2:3], s[2:3], s3, v1, v[0:1]
	s_waitcnt lgkmcnt(0)
	s_mul_hi_u32 s16, s4, 0xa00
	s_mul_i32 s17, s4, 0xa00
	v_mov_b32_e32 v153, v2
	v_mad_u64_u32 v[2:3], s[2:3], s6, v1, 0
	v_or_b32_e32 v218, 0xa00, v220
	v_lshlrev_b32_e32 v89, 3, v218
	v_mov_b32_e32 v0, v3
	v_mad_u64_u32 v[0:1], s[2:3], s7, v1, v[0:1]
	s_add_u32 s2, s8, 0x6400
	s_addc_u32 s3, s9, 0
	v_mov_b32_e32 v3, v0
	v_mad_u64_u32 v[0:1], s[6:7], s4, v220, 0
	v_mov_b32_e32 v217, 0xffffab00
	v_add_u32_e32 v229, 0x1400, v221
	v_mad_u64_u32 v[4:5], s[6:7], s5, v220, v[1:2]
	v_lshlrev_b64 v[2:3], 3, v[2:3]
	s_movk_i32 s6, 0x140
	v_mov_b32_e32 v1, v4
	v_add_co_u32_e32 v16, vcc, s14, v2
	v_mov_b32_e32 v2, s15
	v_lshlrev_b64 v[0:1], 3, v[0:1]
	v_addc_co_u32_e32 v17, vcc, v2, v3, vcc
	v_add_co_u32_e32 v0, vcc, v16, v0
	v_addc_co_u32_e32 v1, vcc, v17, v1, vcc
	global_load_dwordx2 v[2:3], v[0:1], off
	v_add_co_u32_e32 v8, vcc, s8, v221
	v_mov_b32_e32 v4, s9
	v_addc_co_u32_e32 v9, vcc, 0, v4, vcc
	v_add_co_u32_e32 v90, vcc, s6, v220
	s_mul_i32 s6, s5, 0xa00
	s_add_i32 s16, s16, s6
	v_add_co_u32_e32 v0, vcc, s17, v0
	s_movk_i32 s6, 0x1000
	s_movk_i32 s7, 0x3000
	v_add_u32_e32 v227, 0x2800, v221
	v_add_u32_e32 v225, 0x3c00, v221
	;; [unrolled: 1-line block ×14, first 2 shown]
	s_waitcnt vmcnt(0)
	v_mul_f32_e32 v10, v3, v171
	v_fmac_f32_e32 v10, v2, v170
	v_mul_f32_e32 v2, v2, v171
	v_fma_f32 v11, v3, v170, -v2
	v_mov_b32_e32 v2, s16
	v_addc_co_u32_e32 v1, vcc, v1, v2, vcc
	global_load_dwordx2 v[2:3], v[0:1], off
	global_load_dwordx2 v[168:169], v221, s[8:9] offset:2560
	v_add_co_u32_e32 v0, vcc, s17, v0
	s_waitcnt vmcnt(0)
	v_mul_f32_e32 v4, v3, v169
	v_fmac_f32_e32 v4, v2, v168
	v_mul_f32_e32 v2, v2, v169
	v_fma_f32 v5, v3, v168, -v2
	v_mov_b32_e32 v2, s16
	v_addc_co_u32_e32 v1, vcc, v1, v2, vcc
	v_add_co_u32_e32 v6, vcc, s6, v8
	v_addc_co_u32_e32 v7, vcc, 0, v9, vcc
	global_load_dwordx2 v[2:3], v[0:1], off
	global_load_dwordx2 v[162:163], v[6:7], off offset:1024
	ds_write_b64 v221, v[4:5] offset:2560
	v_add_co_u32_e32 v0, vcc, s17, v0
	s_waitcnt vmcnt(0)
	v_mul_f32_e32 v4, v3, v163
	v_fmac_f32_e32 v4, v2, v162
	v_mul_f32_e32 v2, v2, v163
	v_fma_f32 v5, v3, v162, -v2
	v_mov_b32_e32 v2, s16
	ds_write_b64 v221, v[4:5] offset:5120
	v_addc_co_u32_e32 v1, vcc, v1, v2, vcc
	global_load_dwordx2 v[2:3], v[0:1], off
	global_load_dwordx2 v[156:157], v[6:7], off offset:3584
	global_load_dwordx2 v[144:145], v88, s[8:9]
	v_mad_u64_u32 v[0:1], s[14:15], s4, v216, v[0:1]
	s_waitcnt vmcnt(1)
	v_mul_f32_e32 v4, v3, v157
	v_fmac_f32_e32 v4, v2, v156
	v_mul_f32_e32 v2, v2, v157
	v_fma_f32 v5, v3, v156, -v2
	v_mad_u64_u32 v[2:3], s[14:15], s4, v219, 0
	ds_write_b64 v221, v[4:5] offset:7680
	v_mad_u64_u32 v[3:4], s[14:15], s5, v219, v[3:4]
	s_mul_i32 s15, s5, 0x1400
	v_add_u32_e32 v1, s15, v1
	v_lshlrev_b64 v[2:3], 3, v[2:3]
	s_movk_i32 s14, 0x4000
	v_add_co_u32_e32 v2, vcc, v16, v2
	v_addc_co_u32_e32 v3, vcc, v17, v3, vcc
	global_load_dwordx2 v[2:3], v[2:3], off
	s_waitcnt vmcnt(0)
	v_mul_f32_e32 v4, v3, v145
	v_fmac_f32_e32 v4, v2, v144
	v_mul_f32_e32 v2, v2, v145
	v_fma_f32 v5, v3, v144, -v2
	ds_write_b64 v221, v[4:5] offset:10240
	v_add_co_u32_e32 v4, vcc, s7, v8
	v_addc_co_u32_e32 v5, vcc, 0, v9, vcc
	global_load_dwordx2 v[2:3], v[0:1], off
	global_load_dwordx2 v[146:147], v[4:5], off offset:512
	v_add_co_u32_e32 v0, vcc, s17, v0
	s_waitcnt vmcnt(0)
	v_mul_f32_e32 v12, v3, v147
	v_fmac_f32_e32 v12, v2, v146
	v_mul_f32_e32 v2, v2, v147
	v_fma_f32 v13, v3, v146, -v2
	v_mov_b32_e32 v2, s16
	ds_write_b64 v221, v[12:13] offset:12800
	v_addc_co_u32_e32 v1, vcc, v1, v2, vcc
	global_load_dwordx2 v[2:3], v[0:1], off
	global_load_dwordx2 v[138:139], v[4:5], off offset:3072
	v_add_co_u32_e32 v0, vcc, s17, v0
	global_load_dwordx2 v[134:135], v89, s[8:9]
	s_waitcnt vmcnt(1)
	v_mul_f32_e32 v12, v3, v139
	v_fmac_f32_e32 v12, v2, v138
	v_mul_f32_e32 v2, v2, v139
	v_fma_f32 v13, v3, v138, -v2
	v_mov_b32_e32 v2, s16
	v_addc_co_u32_e32 v1, vcc, v1, v2, vcc
	v_add_co_u32_e32 v2, vcc, s14, v8
	v_addc_co_u32_e32 v3, vcc, 0, v9, vcc
	ds_write_b64 v221, v[12:13] offset:15360
	global_load_dwordx2 v[12:13], v[0:1], off
	global_load_dwordx2 v[136:137], v[2:3], off offset:1536
	s_waitcnt vmcnt(0)
	v_mul_f32_e32 v14, v13, v137
	v_fmac_f32_e32 v14, v12, v136
	v_mul_f32_e32 v12, v12, v137
	v_fma_f32 v15, v13, v136, -v12
	v_mad_u64_u32 v[12:13], s[20:21], s4, v218, 0
	ds_write_b64 v221, v[14:15] offset:17920
	v_mad_u64_u32 v[13:14], s[20:21], s5, v218, v[13:14]
	s_mulk_i32 s5, 0xab00
	v_lshlrev_b64 v[12:13], 3, v[12:13]
	v_add_co_u32_e32 v12, vcc, v16, v12
	v_addc_co_u32_e32 v13, vcc, v17, v13, vcc
	global_load_dwordx2 v[12:13], v[12:13], off
	s_waitcnt vmcnt(0)
	v_mul_f32_e32 v14, v13, v135
	v_fmac_f32_e32 v14, v12, v134
	v_mul_f32_e32 v12, v12, v135
	v_fma_f32 v15, v13, v134, -v12
	v_mad_u64_u32 v[12:13], s[20:21], s4, v216, v[0:1]
	ds_write_b64 v221, v[14:15] offset:20480
	v_add_u32_e32 v13, s15, v13
	s_movk_i32 s15, 0x5000
	v_add_co_u32_e32 v0, vcc, s15, v8
	v_addc_co_u32_e32 v1, vcc, 0, v9, vcc
	global_load_dwordx2 v[14:15], v[12:13], off
	global_load_dwordx2 v[132:133], v[0:1], off offset:2560
	v_add_co_u32_e32 v72, vcc, s18, v220
	v_mad_u64_u32 v[12:13], s[18:19], s4, v217, v[12:13]
	s_sub_i32 s4, s5, s4
	s_movk_i32 s5, 0xcd
	v_add_u32_e32 v13, s4, v13
	s_movk_i32 s4, 0x2000
	s_waitcnt vmcnt(0)
	v_mul_f32_e32 v16, v15, v133
	v_fmac_f32_e32 v16, v14, v132
	v_mul_f32_e32 v14, v14, v133
	v_fma_f32 v17, v15, v132, -v14
	ds_write_b64 v221, v[16:17] offset:23040
	global_load_dwordx2 v[14:15], v[12:13], off
	global_load_dwordx2 v[130:131], v221, s[8:9] offset:1280
	s_waitcnt vmcnt(0)
	v_mul_f32_e32 v16, v15, v131
	v_fmac_f32_e32 v16, v14, v130
	v_mul_f32_e32 v14, v14, v131
	v_fma_f32 v17, v15, v130, -v14
	ds_write2_b64 v221, v[10:11], v[16:17] offset1:160
	v_add_co_u32_e32 v10, vcc, s17, v12
	v_mov_b32_e32 v11, s16
	v_addc_co_u32_e32 v11, vcc, v13, v11, vcc
	global_load_dwordx2 v[12:13], v[10:11], off
	global_load_dwordx2 v[142:143], v221, s[8:9] offset:3840
	v_add_co_u32_e32 v10, vcc, s17, v10
	s_waitcnt vmcnt(0)
	v_mul_f32_e32 v14, v13, v143
	v_fmac_f32_e32 v14, v12, v142
	v_mul_f32_e32 v12, v12, v143
	v_fma_f32 v15, v13, v142, -v12
	v_mov_b32_e32 v12, s16
	ds_write_b64 v221, v[14:15] offset:3840
	v_addc_co_u32_e32 v11, vcc, v11, v12, vcc
	global_load_dwordx2 v[12:13], v[10:11], off
	global_load_dwordx2 v[140:141], v[6:7], off offset:2304
	s_waitcnt vmcnt(0)
	v_mul_f32_e32 v6, v13, v141
	v_mul_f32_e32 v7, v12, v141
	v_fmac_f32_e32 v6, v12, v140
	v_fma_f32 v7, v13, v140, -v7
	ds_write_b64 v221, v[6:7] offset:6400
	v_add_co_u32_e32 v6, vcc, s17, v10
	v_mov_b32_e32 v7, s16
	v_addc_co_u32_e32 v7, vcc, v11, v7, vcc
	v_add_co_u32_e32 v8, vcc, s4, v8
	v_addc_co_u32_e32 v9, vcc, 0, v9, vcc
	global_load_dwordx2 v[10:11], v[6:7], off
	global_load_dwordx2 v[166:167], v[8:9], off offset:768
	v_add_co_u32_e32 v6, vcc, s17, v6
	s_waitcnt vmcnt(0)
	v_mul_f32_e32 v12, v11, v167
	v_fmac_f32_e32 v12, v10, v166
	v_mul_f32_e32 v10, v10, v167
	v_fma_f32 v13, v11, v166, -v10
	v_mov_b32_e32 v10, s16
	ds_write_b64 v221, v[12:13] offset:8960
	v_addc_co_u32_e32 v7, vcc, v7, v10, vcc
	global_load_dwordx2 v[10:11], v[6:7], off
	global_load_dwordx2 v[164:165], v[8:9], off offset:3328
	v_add_co_u32_e32 v6, vcc, s17, v6
	s_waitcnt vmcnt(0)
	v_mul_f32_e32 v8, v11, v165
	v_mul_f32_e32 v9, v10, v165
	v_fmac_f32_e32 v8, v10, v164
	v_fma_f32 v9, v11, v164, -v9
	ds_write_b64 v221, v[8:9] offset:11520
	v_mov_b32_e32 v8, s16
	v_addc_co_u32_e32 v7, vcc, v7, v8, vcc
	global_load_dwordx2 v[8:9], v[6:7], off
	global_load_dwordx2 v[160:161], v[4:5], off offset:1792
	s_waitcnt vmcnt(0)
	v_mul_f32_e32 v4, v9, v161
	v_mul_f32_e32 v5, v8, v161
	v_fmac_f32_e32 v4, v8, v160
	v_fma_f32 v5, v9, v160, -v5
	ds_write_b64 v221, v[4:5] offset:14080
	v_add_co_u32_e32 v4, vcc, s17, v6
	v_mov_b32_e32 v5, s16
	v_addc_co_u32_e32 v5, vcc, v7, v5, vcc
	global_load_dwordx2 v[6:7], v[4:5], off
	global_load_dwordx2 v[158:159], v[2:3], off offset:256
	v_add_co_u32_e32 v4, vcc, s17, v4
	s_waitcnt vmcnt(0)
	v_mul_f32_e32 v8, v7, v159
	v_fmac_f32_e32 v8, v6, v158
	v_mul_f32_e32 v6, v6, v159
	v_fma_f32 v9, v7, v158, -v6
	v_mov_b32_e32 v6, s16
	ds_write_b64 v221, v[8:9] offset:16640
	v_addc_co_u32_e32 v5, vcc, v5, v6, vcc
	global_load_dwordx2 v[6:7], v[4:5], off
	global_load_dwordx2 v[154:155], v[2:3], off offset:2816
	s_waitcnt vmcnt(0)
	v_mul_f32_e32 v2, v7, v155
	v_mul_f32_e32 v3, v6, v155
	v_fmac_f32_e32 v2, v6, v154
	v_fma_f32 v3, v7, v154, -v3
	ds_write_b64 v221, v[2:3] offset:19200
	v_add_co_u32_e32 v2, vcc, s17, v4
	v_mov_b32_e32 v3, s16
	v_addc_co_u32_e32 v3, vcc, v5, v3, vcc
	global_load_dwordx2 v[4:5], v[2:3], off
	global_load_dwordx2 v[150:151], v[0:1], off offset:1280
	v_add_co_u32_e32 v2, vcc, s17, v2
	s_waitcnt vmcnt(0)
	v_mul_f32_e32 v6, v5, v151
	v_fmac_f32_e32 v6, v4, v150
	v_mul_f32_e32 v4, v4, v151
	v_fma_f32 v7, v5, v150, -v4
	v_mov_b32_e32 v4, s16
	ds_write_b64 v221, v[6:7] offset:21760
	v_addc_co_u32_e32 v3, vcc, v3, v4, vcc
	global_load_dwordx2 v[4:5], v[2:3], off
	global_load_dwordx2 v[148:149], v[0:1], off offset:3840
	s_waitcnt vmcnt(0)
	v_mul_f32_e32 v0, v5, v149
	v_mul_f32_e32 v1, v4, v149
	v_fmac_f32_e32 v0, v4, v148
	v_fma_f32 v1, v5, v148, -v1
	ds_write_b64 v221, v[0:1] offset:24320
	s_waitcnt lgkmcnt(0)
	s_barrier
	ds_read2_b64 v[0:3], v221 offset1:160
	ds_read2_b64 v[50:53], v229 offset1:160
	;; [unrolled: 1-line block ×5, first 2 shown]
	ds_read2_b64 v[4:7], v230 offset0:64 offset1:224
	s_waitcnt lgkmcnt(4)
	v_add_f32_e32 v16, v0, v50
	s_waitcnt lgkmcnt(3)
	v_add_f32_e32 v16, v16, v54
	;; [unrolled: 2-line block ×4, first 2 shown]
	v_add_f32_e32 v16, v54, v42
	v_fma_f32 v27, -0.5, v16, v0
	v_sub_f32_e32 v16, v51, v47
	v_mov_b32_e32 v28, v27
	v_fmac_f32_e32 v28, 0x3f737871, v16
	v_sub_f32_e32 v17, v55, v43
	v_sub_f32_e32 v18, v50, v54
	v_sub_f32_e32 v19, v46, v42
	v_fmac_f32_e32 v27, 0xbf737871, v16
	v_fmac_f32_e32 v28, 0x3f167918, v17
	v_add_f32_e32 v18, v18, v19
	v_fmac_f32_e32 v27, 0xbf167918, v17
	v_fmac_f32_e32 v28, 0x3e9e377a, v18
	;; [unrolled: 1-line block ×3, first 2 shown]
	v_add_f32_e32 v18, v50, v46
	v_fma_f32 v0, -0.5, v18, v0
	v_mov_b32_e32 v29, v0
	v_fmac_f32_e32 v29, 0xbf737871, v17
	v_fmac_f32_e32 v0, 0x3f737871, v17
	;; [unrolled: 1-line block ×4, first 2 shown]
	v_add_f32_e32 v16, v1, v51
	v_add_f32_e32 v16, v16, v55
	;; [unrolled: 1-line block ×5, first 2 shown]
	v_sub_f32_e32 v18, v54, v50
	v_sub_f32_e32 v19, v42, v46
	v_fma_f32 v58, -0.5, v16, v1
	v_add_f32_e32 v18, v18, v19
	v_sub_f32_e32 v16, v50, v46
	v_mov_b32_e32 v33, v58
	v_fmac_f32_e32 v29, 0x3e9e377a, v18
	v_fmac_f32_e32 v0, 0x3e9e377a, v18
	v_fmac_f32_e32 v33, 0xbf737871, v16
	v_sub_f32_e32 v17, v54, v42
	v_sub_f32_e32 v18, v51, v55
	;; [unrolled: 1-line block ×3, first 2 shown]
	v_fmac_f32_e32 v58, 0x3f737871, v16
	ds_read2_b64 v[34:37], v228 offset0:64 offset1:224
	v_fmac_f32_e32 v33, 0xbf167918, v17
	v_add_f32_e32 v18, v18, v19
	v_fmac_f32_e32 v58, 0x3f167918, v17
	ds_read2_b64 v[38:41], v226 offset0:64 offset1:224
	v_fmac_f32_e32 v33, 0x3e9e377a, v18
	v_fmac_f32_e32 v58, 0x3e9e377a, v18
	v_add_f32_e32 v18, v51, v47
	ds_read2_b64 v[8:11], v224 offset0:64 offset1:224
	v_fma_f32 v1, -0.5, v18, v1
	ds_read2_b64 v[12:15], v222 offset0:64 offset1:224
	v_mov_b32_e32 v42, v1
	v_fmac_f32_e32 v42, 0x3f737871, v17
	v_fmac_f32_e32 v1, 0xbf737871, v17
	;; [unrolled: 1-line block ×4, first 2 shown]
	s_waitcnt lgkmcnt(3)
	v_add_f32_e32 v16, v4, v34
	s_waitcnt lgkmcnt(2)
	v_add_f32_e32 v16, v16, v38
	;; [unrolled: 2-line block ×4, first 2 shown]
	v_add_f32_e32 v16, v38, v8
	v_sub_f32_e32 v18, v55, v51
	v_sub_f32_e32 v19, v43, v47
	v_fma_f32 v25, -0.5, v16, v4
	v_add_f32_e32 v18, v18, v19
	v_sub_f32_e32 v16, v35, v13
	v_mov_b32_e32 v19, v25
	v_fmac_f32_e32 v42, 0x3e9e377a, v18
	v_fmac_f32_e32 v1, 0x3e9e377a, v18
	;; [unrolled: 1-line block ×3, first 2 shown]
	v_sub_f32_e32 v17, v39, v9
	v_sub_f32_e32 v18, v34, v38
	;; [unrolled: 1-line block ×3, first 2 shown]
	v_fmac_f32_e32 v25, 0xbf737871, v16
	v_fmac_f32_e32 v19, 0x3f167918, v17
	v_add_f32_e32 v18, v18, v20
	v_fmac_f32_e32 v25, 0xbf167918, v17
	v_fmac_f32_e32 v19, 0x3e9e377a, v18
	;; [unrolled: 1-line block ×3, first 2 shown]
	v_add_f32_e32 v18, v34, v12
	v_fma_f32 v4, -0.5, v18, v4
	v_mov_b32_e32 v21, v4
	v_fmac_f32_e32 v21, 0xbf737871, v17
	v_fmac_f32_e32 v4, 0x3f737871, v17
	;; [unrolled: 1-line block ×4, first 2 shown]
	v_add_f32_e32 v16, v5, v35
	v_add_f32_e32 v16, v16, v39
	v_add_f32_e32 v16, v16, v9
	v_add_f32_e32 v43, v16, v13
	v_add_f32_e32 v16, v39, v9
	v_fma_f32 v32, -0.5, v16, v5
	v_sub_f32_e32 v20, v8, v12
	v_sub_f32_e32 v12, v34, v12
	v_mov_b32_e32 v23, v32
	v_fmac_f32_e32 v23, 0xbf737871, v12
	v_sub_f32_e32 v8, v38, v8
	v_sub_f32_e32 v16, v35, v39
	;; [unrolled: 1-line block ×3, first 2 shown]
	v_fmac_f32_e32 v32, 0x3f737871, v12
	v_fmac_f32_e32 v23, 0xbf167918, v8
	v_add_f32_e32 v16, v16, v17
	v_fmac_f32_e32 v32, 0x3f167918, v8
	v_fmac_f32_e32 v23, 0x3e9e377a, v16
	;; [unrolled: 1-line block ×3, first 2 shown]
	v_add_f32_e32 v16, v35, v13
	v_fma_f32 v5, -0.5, v16, v5
	v_sub_f32_e32 v18, v38, v34
	v_mov_b32_e32 v34, v5
	v_add_f32_e32 v18, v18, v20
	v_fmac_f32_e32 v34, 0x3f737871, v8
	v_sub_f32_e32 v16, v39, v35
	v_sub_f32_e32 v9, v9, v13
	v_fmac_f32_e32 v5, 0xbf737871, v8
	v_fmac_f32_e32 v4, 0x3e9e377a, v18
	v_fmac_f32_e32 v34, 0xbf167918, v12
	v_add_f32_e32 v9, v16, v9
	v_fmac_f32_e32 v5, 0x3f167918, v12
	v_fmac_f32_e32 v34, 0x3e9e377a, v9
	;; [unrolled: 1-line block ×3, first 2 shown]
	v_mul_f32_e32 v12, 0xbe9e377a, v4
	v_fmac_f32_e32 v21, 0x3e9e377a, v18
	v_mul_f32_e32 v9, 0x3f737871, v34
	v_fmac_f32_e32 v12, 0x3f737871, v5
	v_mul_f32_e32 v5, 0xbe9e377a, v5
	v_mul_f32_e32 v8, 0x3f4f1bbd, v19
	v_fmac_f32_e32 v9, 0x3e9e377a, v21
	v_mul_f32_e32 v35, 0xbf167918, v19
	v_mul_f32_e32 v38, 0xbf737871, v21
	v_fmac_f32_e32 v5, 0xbf737871, v4
	v_fmac_f32_e32 v8, 0x3f167918, v23
	v_add_f32_e32 v20, v29, v9
	v_mul_f32_e32 v13, 0xbf4f1bbd, v25
	v_fmac_f32_e32 v35, 0x3f4f1bbd, v23
	v_fmac_f32_e32 v38, 0x3e9e377a, v34
	v_add_f32_e32 v23, v1, v5
	v_mul_f32_e32 v4, 0xbf4f1bbd, v32
	v_sub_f32_e32 v34, v29, v9
	v_sub_f32_e32 v29, v1, v5
	v_add_f32_e32 v1, v56, v44
	v_fmac_f32_e32 v13, 0x3f167918, v32
	v_fmac_f32_e32 v4, 0xbf167918, v25
	v_fma_f32 v1, -0.5, v1, v2
	v_add_f32_e32 v16, v26, v30
	v_add_f32_e32 v18, v28, v8
	;; [unrolled: 1-line block ×5, first 2 shown]
	v_sub_f32_e32 v26, v26, v30
	v_sub_f32_e32 v32, v28, v8
	;; [unrolled: 1-line block ×6, first 2 shown]
	v_mov_b32_e32 v4, v1
	v_add_f32_e32 v22, v0, v12
	v_sub_f32_e32 v28, v0, v12
	v_fmac_f32_e32 v4, 0x3f737871, v8
	v_sub_f32_e32 v9, v57, v45
	v_sub_f32_e32 v5, v52, v56
	;; [unrolled: 1-line block ×3, first 2 shown]
	v_fmac_f32_e32 v1, 0xbf737871, v8
	v_fmac_f32_e32 v4, 0x3f167918, v9
	v_add_f32_e32 v5, v5, v12
	v_fmac_f32_e32 v1, 0xbf167918, v9
	v_fmac_f32_e32 v4, 0x3e9e377a, v5
	;; [unrolled: 1-line block ×3, first 2 shown]
	v_add_f32_e32 v5, v52, v48
	v_add_f32_e32 v0, v2, v52
	v_fma_f32 v2, -0.5, v5, v2
	v_mov_b32_e32 v5, v2
	v_fmac_f32_e32 v5, 0xbf737871, v9
	v_sub_f32_e32 v12, v56, v52
	v_sub_f32_e32 v13, v44, v48
	v_fmac_f32_e32 v2, 0x3f737871, v9
	v_add_f32_e32 v9, v57, v45
	v_fmac_f32_e32 v5, 0x3f167918, v8
	v_add_f32_e32 v12, v12, v13
	v_fmac_f32_e32 v2, 0xbf167918, v8
	v_fma_f32 v9, -0.5, v9, v3
	v_add_f32_e32 v19, v33, v35
	v_add_f32_e32 v21, v42, v38
	v_sub_f32_e32 v33, v33, v35
	v_sub_f32_e32 v35, v42, v38
	v_fmac_f32_e32 v5, 0x3e9e377a, v12
	v_fmac_f32_e32 v2, 0x3e9e377a, v12
	v_sub_f32_e32 v38, v52, v48
	v_mov_b32_e32 v12, v9
	v_fmac_f32_e32 v12, 0xbf737871, v38
	v_sub_f32_e32 v39, v56, v44
	v_sub_f32_e32 v13, v53, v57
	;; [unrolled: 1-line block ×3, first 2 shown]
	v_fmac_f32_e32 v9, 0x3f737871, v38
	v_fmac_f32_e32 v12, 0xbf167918, v39
	v_add_f32_e32 v13, v13, v42
	v_fmac_f32_e32 v9, 0x3f167918, v39
	v_fmac_f32_e32 v12, 0x3e9e377a, v13
	;; [unrolled: 1-line block ×3, first 2 shown]
	v_add_f32_e32 v13, v53, v49
	v_add_f32_e32 v8, v3, v53
	v_fmac_f32_e32 v3, -0.5, v13
	v_mov_b32_e32 v13, v3
	v_fmac_f32_e32 v13, 0x3f737871, v39
	v_fmac_f32_e32 v3, 0xbf737871, v39
	;; [unrolled: 1-line block ×4, first 2 shown]
	v_add_f32_e32 v38, v6, v36
	v_add_f32_e32 v38, v38, v40
	;; [unrolled: 1-line block ×7, first 2 shown]
	v_sub_f32_e32 v42, v57, v53
	v_sub_f32_e32 v43, v45, v49
	v_fma_f32 v45, -0.5, v38, v6
	v_add_f32_e32 v0, v0, v56
	v_add_f32_e32 v42, v42, v43
	v_sub_f32_e32 v38, v37, v15
	v_mov_b32_e32 v39, v45
	v_add_f32_e32 v0, v0, v44
	v_fmac_f32_e32 v13, 0x3e9e377a, v42
	v_fmac_f32_e32 v3, 0x3e9e377a, v42
	;; [unrolled: 1-line block ×3, first 2 shown]
	v_sub_f32_e32 v42, v41, v11
	v_sub_f32_e32 v43, v36, v40
	;; [unrolled: 1-line block ×3, first 2 shown]
	v_fmac_f32_e32 v45, 0xbf737871, v38
	v_fmac_f32_e32 v39, 0x3f167918, v42
	v_add_f32_e32 v43, v43, v44
	v_fmac_f32_e32 v45, 0xbf167918, v42
	v_fmac_f32_e32 v39, 0x3e9e377a, v43
	;; [unrolled: 1-line block ×3, first 2 shown]
	v_add_f32_e32 v43, v36, v14
	v_fma_f32 v6, -0.5, v43, v6
	v_mov_b32_e32 v43, v6
	v_fmac_f32_e32 v43, 0xbf737871, v42
	v_fmac_f32_e32 v6, 0x3f737871, v42
	;; [unrolled: 1-line block ×4, first 2 shown]
	v_add_f32_e32 v38, v7, v37
	v_add_f32_e32 v38, v38, v41
	v_sub_f32_e32 v44, v40, v36
	v_sub_f32_e32 v47, v10, v14
	v_add_f32_e32 v38, v38, v11
	v_add_f32_e32 v44, v44, v47
	;; [unrolled: 1-line block ×5, first 2 shown]
	v_fma_f32 v48, -0.5, v38, v7
	v_add_f32_e32 v8, v8, v49
	v_sub_f32_e32 v14, v36, v14
	v_mov_b32_e32 v49, v48
	v_fmac_f32_e32 v49, 0xbf737871, v14
	v_sub_f32_e32 v10, v40, v10
	v_sub_f32_e32 v36, v37, v41
	;; [unrolled: 1-line block ×3, first 2 shown]
	v_fmac_f32_e32 v48, 0x3f737871, v14
	v_fmac_f32_e32 v49, 0xbf167918, v10
	v_add_f32_e32 v36, v36, v38
	v_fmac_f32_e32 v48, 0x3f167918, v10
	v_fmac_f32_e32 v49, 0x3e9e377a, v36
	;; [unrolled: 1-line block ×3, first 2 shown]
	v_add_f32_e32 v36, v37, v15
	v_fmac_f32_e32 v7, -0.5, v36
	v_mov_b32_e32 v50, v7
	v_fmac_f32_e32 v50, 0x3f737871, v10
	v_sub_f32_e32 v36, v41, v37
	v_sub_f32_e32 v11, v11, v15
	v_fmac_f32_e32 v7, 0xbf737871, v10
	v_fmac_f32_e32 v43, 0x3e9e377a, v44
	;; [unrolled: 1-line block ×4, first 2 shown]
	v_add_f32_e32 v11, v36, v11
	v_fmac_f32_e32 v7, 0x3f167918, v14
	v_mul_f32_e32 v10, 0x3f4f1bbd, v39
	v_mul_f32_e32 v51, 0xbf167918, v39
	v_fmac_f32_e32 v50, 0x3e9e377a, v11
	v_fmac_f32_e32 v7, 0x3e9e377a, v11
	;; [unrolled: 1-line block ×3, first 2 shown]
	v_mul_f32_e32 v14, 0xbe9e377a, v6
	v_mul_f32_e32 v15, 0xbf4f1bbd, v45
	v_add_f32_e32 v37, v8, v47
	v_fmac_f32_e32 v51, 0x3f4f1bbd, v49
	v_mul_f32_e32 v49, 0xbf737871, v43
	v_sub_f32_e32 v47, v8, v47
	v_mul_lo_u16_e32 v8, 10, v220
	v_mul_f32_e32 v11, 0x3f737871, v50
	v_fmac_f32_e32 v14, 0x3f737871, v7
	v_fmac_f32_e32 v15, 0x3f167918, v48
	;; [unrolled: 1-line block ×3, first 2 shown]
	v_mul_f32_e32 v50, 0xbe9e377a, v7
	v_mul_f32_e32 v48, 0xbf4f1bbd, v48
	v_lshlrev_b32_e32 v234, 3, v8
	v_mul_u32_u24_e32 v8, 10, v72
	v_add_f32_e32 v36, v0, v46
	v_add_f32_e32 v38, v4, v10
	v_fmac_f32_e32 v11, 0x3e9e377a, v43
	v_add_f32_e32 v39, v12, v51
	v_fmac_f32_e32 v50, 0xbf737871, v6
	v_fmac_f32_e32 v48, 0xbf167918, v45
	v_sub_f32_e32 v46, v0, v46
	v_sub_f32_e32 v0, v2, v14
	v_lshlrev_b32_e32 v231, 3, v8
	v_add_f32_e32 v40, v5, v11
	v_add_f32_e32 v42, v2, v14
	v_add_f32_e32 v44, v1, v15
	v_add_f32_e32 v41, v13, v49
	v_add_f32_e32 v43, v3, v50
	v_add_f32_e32 v45, v9, v48
	v_sub_f32_e32 v4, v4, v10
	v_sub_f32_e32 v6, v5, v11
	;; [unrolled: 1-line block ×7, first 2 shown]
	s_barrier
	ds_write_b128 v234, v[16:19]
	ds_write_b128 v234, v[20:23] offset:16
	ds_write_b128 v234, v[24:27] offset:32
	;; [unrolled: 1-line block ×4, first 2 shown]
	ds_write_b128 v231, v[36:39]
	ds_write_b128 v231, v[40:43] offset:16
	ds_write_b128 v231, v[44:47] offset:32
	;; [unrolled: 1-line block ×4, first 2 shown]
	v_mul_lo_u16_sdwa v0, v220, s5 dst_sel:DWORD dst_unused:UNUSED_PAD src0_sel:BYTE_0 src1_sel:DWORD
	v_lshrrev_b16_e32 v75, 11, v0
	v_mul_lo_u16_e32 v0, 10, v75
	v_sub_u16_e32 v0, v220, v0
	v_and_b32_e32 v76, 0xff, v0
	v_mov_b32_e32 v0, s10
	s_movk_i32 s5, 0x48
	v_mov_b32_e32 v1, s11
	v_mad_u64_u32 v[12:13], s[8:9], v76, s5, v[0:1]
	s_waitcnt lgkmcnt(0)
	s_barrier
	ds_read2_b64 v[32:35], v221 offset1:160
	ds_read2_b64 v[41:44], v230 offset0:64 offset1:224
	ds_read2_b64 v[62:65], v229 offset1:160
	ds_read2_b64 v[66:69], v228 offset0:64 offset1:224
	;; [unrolled: 2-line block ×5, first 2 shown]
	global_load_dwordx4 v[0:3], v[12:13], off offset:48
	global_load_dwordx4 v[4:7], v[12:13], off offset:32
	;; [unrolled: 1-line block ×3, first 2 shown]
	global_load_dwordx4 v[16:19], v[12:13], off
	global_load_dwordx2 v[172:173], v[12:13], off offset:64
	s_mov_b32 s5, 0xcccd
	v_mul_u32_u24_e32 v75, 0x64, v75
	v_add_lshl_u32 v232, v75, v76, 3
	s_waitcnt vmcnt(4) lgkmcnt(1)
	v_mul_f32_e32 v60, v99, v3
	s_waitcnt vmcnt(3)
	v_mul_f32_e32 v59, v91, v7
	s_waitcnt vmcnt(2)
	;; [unrolled: 2-line block ×3, first 2 shown]
	v_mul_f32_e32 v14, v42, v17
	s_waitcnt vmcnt(0) lgkmcnt(0)
	v_mul_f32_e32 v12, v37, v173
	v_fma_f32 v40, v41, v16, -v14
	v_mul_f32_e32 v14, v63, v19
	v_fma_f32 v56, v36, v172, -v12
	v_mul_u32_u24_sdwa v12, v72, s5 dst_sel:DWORD dst_unused:UNUSED_PAD src0_sel:WORD_0 src1_sel:DWORD
	v_fma_f32 v61, v62, v18, -v14
	v_mul_f32_e32 v14, v67, v9
	v_lshrrev_b32_e32 v73, 19, v12
	v_fma_f32 v53, v66, v8, -v14
	v_mul_f32_e32 v14, v80, v11
	v_mul_lo_u16_e32 v12, 10, v73
	v_mul_f32_e32 v57, v62, v19
	v_fma_f32 v62, v79, v10, -v14
	v_mul_f32_e32 v14, v84, v5
	v_sub_u16_e32 v74, v72, v12
	v_fma_f32 v54, v83, v4, -v14
	v_mul_f32_e32 v14, v92, v7
	v_mul_lo_u16_e32 v12, 0x48, v74
	v_fmac_f32_e32 v57, v63, v18
	v_fma_f32 v63, v91, v6, -v14
	v_mul_f32_e32 v14, v96, v1
	v_add_co_u32_e32 v66, vcc, s10, v12
	v_mov_b32_e32 v91, s11
	v_fmac_f32_e32 v48, v67, v8
	v_fma_f32 v55, v95, v0, -v14
	v_mul_f32_e32 v14, v100, v3
	v_addc_co_u32_e32 v67, vcc, 0, v91, vcc
	v_fma_f32 v70, v99, v2, -v14
	global_load_dwordx4 v[12:15], v[66:67], off offset:48
	global_load_dwordx4 v[20:23], v[66:67], off offset:32
	;; [unrolled: 1-line block ×3, first 2 shown]
	global_load_dwordx4 v[28:31], v[66:67], off
	global_load_dwordx2 v[174:175], v[66:67], off offset:64
	v_mul_f32_e32 v52, v36, v173
	v_fmac_f32_e32 v52, v37, v172
	v_mul_f32_e32 v58, v79, v11
	v_mul_f32_e32 v41, v41, v17
	;; [unrolled: 1-line block ×3, first 2 shown]
	v_fmac_f32_e32 v41, v42, v16
	v_fmac_f32_e32 v49, v84, v4
	;; [unrolled: 1-line block ×5, first 2 shown]
	v_sub_f32_e32 v66, v58, v59
	v_sub_f32_e32 v67, v61, v62
	v_mul_f32_e32 v50, v95, v1
	v_fmac_f32_e32 v50, v96, v0
	s_movk_i32 s5, 0x64
	s_waitcnt vmcnt(0)
	s_barrier
	v_cmp_gt_u16_e32 vcc, s5, v220
	v_mul_f32_e32 v78, v93, v23
	v_mul_f32_e32 v77, v81, v27
	;; [unrolled: 1-line block ×3, first 2 shown]
	v_fma_f32 v37, v43, v28, -v36
	v_mul_f32_e32 v36, v65, v31
	v_fma_f32 v79, v64, v30, -v36
	v_mul_f32_e32 v51, v64, v31
	v_mul_f32_e32 v64, v102, v15
	v_fma_f32 v83, v101, v14, -v64
	v_mul_f32_e32 v64, v39, v175
	v_mul_f32_e32 v42, v43, v29
	;; [unrolled: 1-line block ×3, first 2 shown]
	v_fma_f32 v84, v38, v174, -v64
	v_add_f32_e32 v64, v62, v63
	v_fmac_f32_e32 v51, v65, v30
	v_fma_f32 v80, v81, v26, -v43
	v_mul_f32_e32 v43, v86, v21
	v_fma_f32 v65, -0.5, v64, v32
	v_mul_f32_e32 v36, v69, v25
	v_fma_f32 v46, v85, v20, -v43
	v_mul_f32_e32 v43, v85, v21
	v_sub_f32_e32 v64, v57, v60
	v_mov_b32_e32 v85, v65
	v_fma_f32 v45, v68, v24, -v36
	v_mul_f32_e32 v36, v68, v25
	v_fmac_f32_e32 v85, 0x3f737871, v64
	v_sub_f32_e32 v68, v70, v63
	v_fmac_f32_e32 v65, 0xbf737871, v64
	v_fmac_f32_e32 v85, 0x3f167918, v66
	v_add_f32_e32 v67, v67, v68
	v_fmac_f32_e32 v65, 0xbf167918, v66
	v_mul_f32_e32 v38, v38, v175
	v_fmac_f32_e32 v85, 0x3e9e377a, v67
	v_fmac_f32_e32 v65, 0x3e9e377a, v67
	v_add_f32_e32 v67, v61, v70
	v_fmac_f32_e32 v38, v39, v174
	v_add_f32_e32 v39, v32, v61
	v_fma_f32 v32, -0.5, v67, v32
	v_fmac_f32_e32 v43, v86, v20
	v_mov_b32_e32 v86, v32
	v_fmac_f32_e32 v86, 0xbf737871, v66
	v_fmac_f32_e32 v32, 0x3f737871, v66
	;; [unrolled: 1-line block ×4, first 2 shown]
	v_add_f32_e32 v64, v33, v57
	v_add_f32_e32 v64, v64, v58
	;; [unrolled: 1-line block ×5, first 2 shown]
	v_fmac_f32_e32 v42, v44, v28
	v_mul_f32_e32 v44, v94, v23
	v_fma_f32 v92, -0.5, v64, v33
	v_fmac_f32_e32 v77, v82, v26
	v_fma_f32 v82, v93, v22, -v44
	v_add_f32_e32 v39, v39, v62
	v_sub_f32_e32 v67, v62, v61
	v_sub_f32_e32 v61, v61, v70
	v_mov_b32_e32 v93, v92
	v_add_f32_e32 v39, v39, v63
	v_sub_f32_e32 v68, v63, v70
	v_fmac_f32_e32 v93, 0xbf737871, v61
	v_sub_f32_e32 v62, v62, v63
	v_sub_f32_e32 v63, v57, v58
	v_sub_f32_e32 v64, v60, v59
	v_fmac_f32_e32 v92, 0x3f737871, v61
	v_fmac_f32_e32 v93, 0xbf167918, v62
	v_add_f32_e32 v63, v63, v64
	v_fmac_f32_e32 v92, 0x3f167918, v62
	v_fmac_f32_e32 v93, 0x3e9e377a, v63
	;; [unrolled: 1-line block ×3, first 2 shown]
	v_add_f32_e32 v63, v57, v60
	v_sub_f32_e32 v57, v58, v57
	v_sub_f32_e32 v58, v59, v60
	v_fma_f32 v33, -0.5, v63, v33
	v_add_f32_e32 v57, v57, v58
	v_add_f32_e32 v58, v54, v55
	v_fmac_f32_e32 v78, v94, v22
	v_mov_b32_e32 v94, v33
	v_fma_f32 v58, -0.5, v58, v40
	v_fmac_f32_e32 v94, 0x3f737871, v62
	v_fmac_f32_e32 v33, 0xbf737871, v62
	v_sub_f32_e32 v59, v48, v52
	v_mov_b32_e32 v60, v58
	v_fmac_f32_e32 v94, 0xbf167918, v61
	v_fmac_f32_e32 v33, 0x3f167918, v61
	;; [unrolled: 1-line block ×3, first 2 shown]
	v_sub_f32_e32 v61, v49, v50
	v_sub_f32_e32 v62, v53, v54
	;; [unrolled: 1-line block ×3, first 2 shown]
	v_fmac_f32_e32 v58, 0xbf737871, v59
	v_fmac_f32_e32 v60, 0x3f167918, v61
	v_add_f32_e32 v62, v62, v63
	v_fmac_f32_e32 v58, 0xbf167918, v61
	v_fmac_f32_e32 v60, 0x3e9e377a, v62
	;; [unrolled: 1-line block ×3, first 2 shown]
	v_add_f32_e32 v62, v53, v56
	v_fmac_f32_e32 v94, 0x3e9e377a, v57
	v_fmac_f32_e32 v33, 0x3e9e377a, v57
	v_add_f32_e32 v57, v40, v53
	v_fmac_f32_e32 v40, -0.5, v62
	v_mov_b32_e32 v63, v40
	v_add_f32_e32 v57, v57, v54
	v_fmac_f32_e32 v63, 0xbf737871, v61
	v_fmac_f32_e32 v40, 0x3f737871, v61
	v_add_f32_e32 v61, v49, v50
	v_add_f32_e32 v57, v57, v55
	v_sub_f32_e32 v62, v54, v53
	v_sub_f32_e32 v64, v55, v56
	v_fma_f32 v61, -0.5, v61, v41
	v_add_f32_e32 v57, v57, v56
	v_fmac_f32_e32 v63, 0x3f167918, v59
	v_add_f32_e32 v62, v62, v64
	v_fmac_f32_e32 v40, 0xbf167918, v59
	v_sub_f32_e32 v53, v53, v56
	v_mov_b32_e32 v56, v61
	v_fmac_f32_e32 v63, 0x3e9e377a, v62
	v_fmac_f32_e32 v40, 0x3e9e377a, v62
	;; [unrolled: 1-line block ×3, first 2 shown]
	v_sub_f32_e32 v54, v54, v55
	v_sub_f32_e32 v55, v48, v49
	;; [unrolled: 1-line block ×3, first 2 shown]
	v_fmac_f32_e32 v61, 0x3f737871, v53
	v_fmac_f32_e32 v56, 0xbf167918, v54
	v_add_f32_e32 v55, v55, v62
	v_fmac_f32_e32 v61, 0x3f167918, v54
	v_fmac_f32_e32 v56, 0x3e9e377a, v55
	;; [unrolled: 1-line block ×3, first 2 shown]
	v_add_f32_e32 v55, v48, v52
	v_add_f32_e32 v59, v41, v48
	v_fmac_f32_e32 v41, -0.5, v55
	v_add_f32_e32 v59, v59, v49
	v_mov_b32_e32 v55, v41
	v_sub_f32_e32 v48, v49, v48
	v_sub_f32_e32 v49, v50, v52
	v_fmac_f32_e32 v41, 0xbf737871, v54
	v_add_f32_e32 v48, v48, v49
	v_fmac_f32_e32 v41, 0x3f167918, v53
	v_add_f32_e32 v67, v67, v68
	v_add_f32_e32 v59, v59, v50
	v_fmac_f32_e32 v41, 0x3e9e377a, v48
	v_mul_f32_e32 v50, 0xbe9e377a, v40
	v_fmac_f32_e32 v32, 0x3e9e377a, v67
	v_fmac_f32_e32 v50, 0x3f737871, v41
	v_fmac_f32_e32 v55, 0x3f737871, v54
	v_add_f32_e32 v66, v32, v50
	v_mul_f32_e32 v41, 0xbe9e377a, v41
	v_sub_f32_e32 v54, v32, v50
	v_add_f32_e32 v32, v34, v79
	v_fmac_f32_e32 v41, 0xbf737871, v40
	v_mul_f32_e32 v40, 0xbf4f1bbd, v61
	v_add_f32_e32 v32, v32, v80
	v_mul_f32_e32 v44, v98, v13
	v_add_f32_e32 v39, v39, v70
	v_fmac_f32_e32 v55, 0xbf167918, v53
	v_fmac_f32_e32 v40, 0xbf167918, v58
	v_add_f32_e32 v32, v32, v82
	v_fma_f32 v47, v97, v12, -v44
	v_mul_f32_e32 v44, v97, v13
	v_mul_f32_e32 v81, v101, v15
	v_fmac_f32_e32 v55, 0x3e9e377a, v48
	v_add_f32_e32 v68, v39, v57
	v_mul_f32_e32 v48, 0x3f167918, v56
	v_mul_f32_e32 v97, 0xbf737871, v63
	v_add_f32_e32 v53, v92, v40
	v_sub_f32_e32 v64, v39, v57
	v_sub_f32_e32 v57, v92, v40
	v_add_f32_e32 v40, v32, v83
	v_add_f32_e32 v32, v80, v82
	v_fmac_f32_e32 v81, v102, v14
	v_fmac_f32_e32 v86, 0x3e9e377a, v67
	;; [unrolled: 1-line block ×3, first 2 shown]
	v_mul_f32_e32 v49, 0x3f737871, v55
	v_fmac_f32_e32 v97, 0x3e9e377a, v55
	v_add_f32_e32 v67, v33, v41
	v_sub_f32_e32 v55, v33, v41
	v_fma_f32 v41, -0.5, v32, v34
	v_add_f32_e32 v70, v85, v48
	v_mul_f32_e32 v95, 0xbf4f1bbd, v58
	v_sub_f32_e32 v58, v85, v48
	v_sub_f32_e32 v32, v51, v81
	v_mov_b32_e32 v85, v41
	v_fmac_f32_e32 v85, 0x3f737871, v32
	v_sub_f32_e32 v33, v77, v78
	v_sub_f32_e32 v39, v79, v80
	;; [unrolled: 1-line block ×3, first 2 shown]
	v_fmac_f32_e32 v41, 0xbf737871, v32
	v_fmac_f32_e32 v85, 0x3f167918, v33
	v_add_f32_e32 v39, v39, v48
	v_fmac_f32_e32 v41, 0xbf167918, v33
	v_fmac_f32_e32 v85, 0x3e9e377a, v39
	;; [unrolled: 1-line block ×3, first 2 shown]
	v_add_f32_e32 v39, v79, v83
	v_fmac_f32_e32 v49, 0x3e9e377a, v63
	v_fma_f32 v34, -0.5, v39, v34
	v_add_f32_e32 v62, v86, v49
	v_mul_f32_e32 v96, 0xbf167918, v60
	v_sub_f32_e32 v60, v86, v49
	v_mov_b32_e32 v86, v34
	v_fmac_f32_e32 v86, 0xbf737871, v33
	v_fmac_f32_e32 v34, 0x3f737871, v33
	;; [unrolled: 1-line block ×4, first 2 shown]
	v_add_f32_e32 v32, v35, v51
	v_add_f32_e32 v32, v32, v77
	;; [unrolled: 1-line block ×3, first 2 shown]
	v_fmac_f32_e32 v95, 0x3f167918, v61
	v_add_f32_e32 v32, v32, v78
	v_fmac_f32_e32 v36, v69, v24
	v_add_f32_e32 v52, v65, v95
	v_add_f32_e32 v69, v87, v59
	v_fmac_f32_e32 v96, 0x3f4f1bbd, v56
	v_sub_f32_e32 v56, v65, v95
	v_sub_f32_e32 v65, v87, v59
	v_add_f32_e32 v87, v32, v81
	v_add_f32_e32 v32, v77, v78
	v_sub_f32_e32 v39, v80, v79
	v_sub_f32_e32 v48, v82, v83
	v_fma_f32 v92, -0.5, v32, v35
	v_add_f32_e32 v39, v39, v48
	v_sub_f32_e32 v32, v79, v83
	v_mov_b32_e32 v79, v92
	v_fmac_f32_e32 v86, 0x3e9e377a, v39
	v_fmac_f32_e32 v34, 0x3e9e377a, v39
	;; [unrolled: 1-line block ×3, first 2 shown]
	v_sub_f32_e32 v33, v80, v82
	v_sub_f32_e32 v39, v51, v77
	v_sub_f32_e32 v48, v81, v78
	v_fmac_f32_e32 v92, 0x3f737871, v32
	v_fmac_f32_e32 v79, 0xbf167918, v33
	v_add_f32_e32 v39, v39, v48
	v_fmac_f32_e32 v92, 0x3f167918, v33
	v_fmac_f32_e32 v79, 0x3e9e377a, v39
	;; [unrolled: 1-line block ×3, first 2 shown]
	v_add_f32_e32 v39, v51, v81
	v_fmac_f32_e32 v35, -0.5, v39
	v_mov_b32_e32 v80, v35
	v_fmac_f32_e32 v80, 0x3f737871, v33
	v_fmac_f32_e32 v35, 0xbf737871, v33
	;; [unrolled: 1-line block ×4, first 2 shown]
	v_add_f32_e32 v32, v37, v45
	v_add_f32_e32 v32, v32, v46
	;; [unrolled: 1-line block ×3, first 2 shown]
	v_sub_f32_e32 v39, v77, v51
	v_add_f32_e32 v77, v32, v84
	v_add_f32_e32 v32, v46, v47
	v_sub_f32_e32 v48, v78, v81
	v_fma_f32 v78, -0.5, v32, v37
	v_fmac_f32_e32 v44, v98, v12
	v_add_f32_e32 v39, v39, v48
	v_sub_f32_e32 v32, v36, v38
	v_mov_b32_e32 v33, v78
	v_fmac_f32_e32 v80, 0x3e9e377a, v39
	v_fmac_f32_e32 v35, 0x3e9e377a, v39
	;; [unrolled: 1-line block ×3, first 2 shown]
	v_sub_f32_e32 v39, v43, v44
	v_sub_f32_e32 v48, v45, v46
	;; [unrolled: 1-line block ×3, first 2 shown]
	v_fmac_f32_e32 v78, 0xbf737871, v32
	v_fmac_f32_e32 v33, 0x3f167918, v39
	v_add_f32_e32 v48, v48, v49
	v_fmac_f32_e32 v78, 0xbf167918, v39
	v_fmac_f32_e32 v33, 0x3e9e377a, v48
	;; [unrolled: 1-line block ×3, first 2 shown]
	v_add_f32_e32 v48, v45, v84
	v_fmac_f32_e32 v37, -0.5, v48
	v_mov_b32_e32 v81, v37
	v_fmac_f32_e32 v81, 0xbf737871, v39
	v_fmac_f32_e32 v37, 0x3f737871, v39
	;; [unrolled: 1-line block ×4, first 2 shown]
	v_add_f32_e32 v32, v42, v36
	v_add_f32_e32 v32, v32, v43
	;; [unrolled: 1-line block ×5, first 2 shown]
	v_fma_f32 v83, -0.5, v32, v42
	v_sub_f32_e32 v32, v45, v84
	v_mov_b32_e32 v39, v83
	v_sub_f32_e32 v48, v46, v45
	v_sub_f32_e32 v49, v47, v84
	v_fmac_f32_e32 v39, 0xbf737871, v32
	v_sub_f32_e32 v45, v46, v47
	v_sub_f32_e32 v46, v36, v43
	;; [unrolled: 1-line block ×3, first 2 shown]
	v_fmac_f32_e32 v83, 0x3f737871, v32
	v_fmac_f32_e32 v39, 0xbf167918, v45
	v_add_f32_e32 v46, v46, v47
	v_fmac_f32_e32 v83, 0x3f167918, v45
	v_fmac_f32_e32 v39, 0x3e9e377a, v46
	;; [unrolled: 1-line block ×3, first 2 shown]
	v_add_f32_e32 v46, v36, v38
	v_fmac_f32_e32 v42, -0.5, v46
	v_mov_b32_e32 v46, v42
	v_fmac_f32_e32 v46, 0x3f737871, v45
	v_sub_f32_e32 v36, v43, v36
	v_sub_f32_e32 v38, v44, v38
	v_fmac_f32_e32 v46, 0xbf167918, v32
	v_add_f32_e32 v36, v36, v38
	v_fmac_f32_e32 v42, 0xbf737871, v45
	v_add_f32_e32 v48, v48, v49
	v_fmac_f32_e32 v46, 0x3e9e377a, v36
	v_fmac_f32_e32 v42, 0x3f167918, v32
	v_add_f32_e32 v71, v93, v96
	v_fmac_f32_e32 v81, 0x3e9e377a, v48
	v_fmac_f32_e32 v37, 0x3e9e377a, v48
	;; [unrolled: 1-line block ×3, first 2 shown]
	v_mul_f32_e32 v43, 0x3f167918, v39
	v_mul_f32_e32 v44, 0x3f737871, v46
	;; [unrolled: 1-line block ×4, first 2 shown]
	v_add_f32_e32 v63, v94, v97
	v_sub_f32_e32 v59, v93, v96
	v_sub_f32_e32 v61, v94, v97
	v_fmac_f32_e32 v43, 0x3f4f1bbd, v33
	v_fmac_f32_e32 v44, 0x3e9e377a, v81
	v_mul_f32_e32 v45, 0xbe9e377a, v37
	v_fmac_f32_e32 v47, 0x3f167918, v83
	v_fmac_f32_e32 v84, 0x3f4f1bbd, v39
	v_mul_f32_e32 v81, 0xbf737871, v81
	v_mul_f32_e32 v93, 0xbe9e377a, v42
	;; [unrolled: 1-line block ×3, first 2 shown]
	ds_write2_b64 v232, v[68:69], v[70:71] offset1:10
	ds_write2_b64 v232, v[62:63], v[66:67] offset0:20 offset1:30
	ds_write2_b64 v232, v[52:53], v[64:65] offset0:40 offset1:50
	;; [unrolled: 1-line block ×4, first 2 shown]
	v_mad_legacy_u16 v52, v73, s5, v74
	v_add_f32_e32 v48, v40, v77
	v_add_f32_e32 v50, v85, v43
	;; [unrolled: 1-line block ×3, first 2 shown]
	v_fmac_f32_e32 v45, 0x3f737871, v42
	v_add_f32_e32 v49, v87, v82
	v_add_f32_e32 v51, v79, v84
	v_fmac_f32_e32 v81, 0x3e9e377a, v46
	v_fmac_f32_e32 v93, 0xbf737871, v37
	;; [unrolled: 1-line block ×3, first 2 shown]
	v_lshlrev_b32_e32 v233, 3, v52
	v_add_f32_e32 v38, v34, v45
	v_add_f32_e32 v36, v41, v47
	;; [unrolled: 1-line block ×5, first 2 shown]
	v_sub_f32_e32 v46, v40, v77
	v_sub_f32_e32 v42, v85, v43
	;; [unrolled: 1-line block ×10, first 2 shown]
	ds_write2_b64 v233, v[48:49], v[50:51] offset1:10
	ds_write2_b64 v233, v[32:33], v[38:39] offset0:20 offset1:30
	ds_write2_b64 v233, v[36:37], v[46:47] offset0:40 offset1:50
	;; [unrolled: 1-line block ×4, first 2 shown]
	v_add_u32_e32 v32, 0xffffff9c, v220
	v_cndmask_b32_e32 v60, v32, v220, vcc
	v_mul_i32_i24_e32 v32, 24, v60
	v_mul_hi_i32_i24_e32 v33, 24, v60
	v_add_co_u32_e32 v32, vcc, s10, v32
	v_addc_co_u32_e32 v33, vcc, v91, v33, vcc
	s_waitcnt lgkmcnt(0)
	s_barrier
	ds_read2_b64 v[67:70], v221 offset1:160
	ds_read2_b64 v[52:55], v229 offset1:160
	ds_read2_b64 v[38:41], v226 offset0:64 offset1:224
	ds_read2_b64 v[73:76], v224 offset0:64 offset1:224
	;; [unrolled: 1-line block ×3, first 2 shown]
	ds_read2_b64 v[46:49], v223 offset1:160
	ds_read2_b64 v[56:59], v230 offset0:64 offset1:224
	ds_read2_b64 v[63:66], v225 offset1:160
	ds_read2_b64 v[77:80], v227 offset1:160
	ds_read2_b64 v[81:84], v222 offset0:64 offset1:224
	global_load_dwordx2 v[178:179], v[32:33], off offset:736
	s_nop 0
	global_load_dwordx4 v[32:35], v[32:33], off offset:720
	s_movk_i32 s5, 0x63
	s_waitcnt vmcnt(0) lgkmcnt(8)
	v_mul_f32_e32 v36, v55, v33
	v_fma_f32 v71, v54, v32, -v36
	s_waitcnt lgkmcnt(7)
	v_mul_f32_e32 v36, v39, v35
	v_fma_f32 v86, v38, v34, -v36
	s_waitcnt lgkmcnt(6)
	v_mul_f32_e32 v36, v76, v179
	v_fma_f32 v92, v75, v178, -v36
	v_lshrrev_b16_e32 v36, 2, v72
	v_mul_u32_u24_e32 v36, 0x147b, v36
	v_mul_f32_e32 v85, v54, v33
	v_lshrrev_b32_e32 v54, 17, v36
	v_mul_lo_u16_e32 v36, 0x64, v54
	v_fmac_f32_e32 v85, v55, v32
	v_sub_u16_e32 v55, v72, v36
	v_mul_lo_u16_e32 v36, 24, v55
	v_add_co_u32_e32 v36, vcc, s10, v36
	v_mul_f32_e32 v87, v38, v35
	v_addc_co_u32_e32 v37, vcc, 0, v91, vcc
	v_fmac_f32_e32 v87, v39, v34
	global_load_dwordx2 v[176:177], v[36:37], off offset:736
	s_nop 0
	global_load_dwordx4 v[36:39], v[36:37], off offset:720
	v_mul_f32_e32 v75, v75, v179
	v_fmac_f32_e32 v75, v76, v178
	v_sub_f32_e32 v76, v67, v86
	v_sub_f32_e32 v75, v85, v75
	s_waitcnt vmcnt(1) lgkmcnt(4)
	v_mul_f32_e32 v98, v46, v177
	s_waitcnt vmcnt(0)
	v_mul_f32_e32 v50, v43, v37
	v_fma_f32 v93, v42, v36, -v50
	v_mul_f32_e32 v94, v42, v37
	v_mul_f32_e32 v42, v41, v39
	v_fma_f32 v95, v40, v38, -v42
	v_mul_f32_e32 v96, v40, v39
	v_mul_f32_e32 v40, v47, v177
	v_fma_f32 v97, v46, v176, -v40
	v_lshrrev_b16_e32 v40, 2, v90
	v_mul_u32_u24_e32 v40, 0x147b, v40
	v_lshrrev_b32_e32 v61, 17, v40
	v_mul_lo_u16_e32 v40, 0x64, v61
	v_sub_u16_e32 v62, v90, v40
	v_mul_lo_u16_e32 v40, 24, v62
	v_add_co_u32_e32 v40, vcc, s10, v40
	v_fmac_f32_e32 v96, v41, v38
	v_addc_co_u32_e32 v41, vcc, 0, v91, vcc
	v_fmac_f32_e32 v94, v43, v36
	global_load_dwordx2 v[180:181], v[40:41], off offset:736
	s_nop 0
	global_load_dwordx4 v[40:43], v[40:41], off offset:720
	v_fmac_f32_e32 v98, v47, v176
	s_waitcnt vmcnt(1)
	v_mul_f32_e32 v104, v48, v181
	s_waitcnt vmcnt(0)
	v_mul_f32_e32 v46, v45, v41
	v_fma_f32 v99, v44, v40, -v46
	v_mul_f32_e32 v100, v44, v41
	s_waitcnt lgkmcnt(2)
	v_mul_f32_e32 v44, v64, v43
	v_fma_f32 v101, v63, v42, -v44
	v_mul_f32_e32 v44, v49, v181
	v_fma_f32 v103, v48, v180, -v44
	v_add_u16_e32 v44, 0x1e0, v220
	v_fmac_f32_e32 v100, v45, v40
	v_lshrrev_b16_e32 v45, 2, v44
	v_mul_u32_u24_e32 v45, 0x147b, v45
	v_mul_f32_e32 v102, v63, v43
	v_lshrrev_b32_e32 v63, 17, v45
	v_mul_lo_u16_e32 v45, 0x64, v63
	v_fmac_f32_e32 v102, v64, v42
	v_sub_u16_e32 v64, v44, v45
	v_mul_lo_u16_e32 v44, 24, v64
	v_add_co_u32_e32 v44, vcc, s10, v44
	v_addc_co_u32_e32 v45, vcc, 0, v91, vcc
	global_load_dwordx2 v[182:183], v[44:45], off offset:736
	s_nop 0
	global_load_dwordx4 v[44:47], v[44:45], off offset:720
	v_fmac_f32_e32 v104, v49, v180
	v_sub_f32_e32 v86, v99, v103
	s_waitcnt vmcnt(1) lgkmcnt(0)
	v_mul_f32_e32 v110, v81, v183
	s_waitcnt vmcnt(0)
	v_mul_f32_e32 v48, v78, v45
	v_fma_f32 v105, v77, v44, -v48
	v_mul_f32_e32 v48, v66, v47
	v_fma_f32 v107, v65, v46, -v48
	v_mul_f32_e32 v48, v82, v183
	v_fma_f32 v109, v81, v182, -v48
	v_add_u16_e32 v48, 0x280, v220
	v_lshrrev_b16_e32 v49, 2, v48
	v_mul_u32_u24_e32 v49, 0x147b, v49
	v_mul_f32_e32 v108, v65, v47
	v_lshrrev_b32_e32 v65, 17, v49
	v_mul_lo_u16_e32 v49, 0x64, v65
	v_fmac_f32_e32 v108, v66, v46
	v_sub_u16_e32 v66, v48, v49
	v_mul_lo_u16_e32 v48, 24, v66
	v_add_co_u32_e32 v48, vcc, s10, v48
	v_addc_co_u32_e32 v49, vcc, 0, v91, vcc
	global_load_dwordx2 v[184:185], v[48:49], off offset:736
	s_nop 0
	global_load_dwordx4 v[48:51], v[48:49], off offset:720
	v_mul_f32_e32 v106, v77, v45
	v_sub_f32_e32 v77, v68, v87
	v_sub_f32_e32 v81, v69, v95
	;; [unrolled: 1-line block ×3, first 2 shown]
	v_fmac_f32_e32 v106, v78, v44
	v_fmac_f32_e32 v110, v82, v182
	v_sub_f32_e32 v82, v70, v96
	v_sub_f32_e32 v96, v106, v110
	v_fma_f32 v78, v70, 2.0, -v82
	v_cmp_lt_u16_e32 vcc, s5, v220
	s_movk_i32 s5, 0x190
	v_mad_legacy_u16 v54, v54, s5, v55
	v_lshlrev_b32_e32 v236, 3, v54
	v_add_u32_e32 v239, 0x400, v236
	v_mad_legacy_u16 v54, v61, s5, v62
	s_waitcnt vmcnt(0)
	s_barrier
	v_lshlrev_b32_e32 v238, 3, v54
	v_mad_legacy_u16 v54, v63, s5, v64
	v_lshlrev_b32_e32 v240, 3, v54
	v_mad_legacy_u16 v54, v65, s5, v66
	v_lshlrev_b32_e32 v242, 3, v54
	v_add_u32_e32 v241, 0x400, v238
	v_add_u32_e32 v243, 0x400, v240
	;; [unrolled: 1-line block ×3, first 2 shown]
	s_movk_i32 s5, 0x1b30
	v_mul_f32_e32 v116, v83, v185
	v_mul_f32_e32 v72, v80, v49
	v_fma_f32 v111, v79, v48, -v72
	v_mul_f32_e32 v72, v74, v51
	v_mul_f32_e32 v114, v73, v51
	v_fma_f32 v113, v73, v50, -v72
	v_fmac_f32_e32 v114, v74, v50
	v_mul_f32_e32 v72, v84, v185
	v_sub_f32_e32 v74, v71, v92
	v_fma_f32 v115, v83, v184, -v72
	v_fma_f32 v72, v67, 2.0, -v76
	v_fma_f32 v73, v68, 2.0, -v77
	;; [unrolled: 1-line block ×4, first 2 shown]
	v_mul_f32_e32 v112, v79, v49
	v_sub_f32_e32 v67, v72, v67
	v_sub_f32_e32 v68, v73, v68
	v_fmac_f32_e32 v112, v80, v48
	v_fma_f32 v71, v72, 2.0, -v67
	v_fma_f32 v72, v73, 2.0, -v68
	v_sub_f32_e32 v73, v76, v75
	v_add_f32_e32 v74, v77, v74
	v_sub_f32_e32 v80, v93, v97
	v_fma_f32 v75, v76, 2.0, -v73
	v_fma_f32 v76, v77, 2.0, -v74
	;; [unrolled: 1-line block ×4, first 2 shown]
	v_sub_f32_e32 v93, v57, v102
	v_sub_f32_e32 v85, v100, v104
	v_fmac_f32_e32 v116, v84, v184
	v_fma_f32 v84, v57, 2.0, -v93
	v_fma_f32 v57, v100, 2.0, -v85
	v_sub_f32_e32 v85, v87, v85
	v_fma_f32 v83, v56, 2.0, -v87
	v_fma_f32 v56, v99, 2.0, -v86
	;; [unrolled: 1-line block ×3, first 2 shown]
	v_sub_f32_e32 v87, v58, v107
	v_sub_f32_e32 v99, v59, v108
	;; [unrolled: 1-line block ×3, first 2 shown]
	v_fma_f32 v95, v59, 2.0, -v99
	v_sub_f32_e32 v97, v105, v109
	v_fma_f32 v59, v106, 2.0, -v96
	v_sub_f32_e32 v96, v87, v96
	v_fma_f32 v70, v94, 2.0, -v79
	v_fma_f32 v94, v58, 2.0, -v87
	;; [unrolled: 1-line block ×4, first 2 shown]
	v_sub_f32_e32 v87, v52, v113
	v_sub_f32_e32 v105, v53, v114
	;; [unrolled: 1-line block ×3, first 2 shown]
	v_fma_f32 v101, v53, 2.0, -v105
	v_fma_f32 v53, v112, 2.0, -v102
	v_sub_f32_e32 v102, v87, v102
	v_fma_f32 v100, v52, 2.0, -v87
	v_fma_f32 v104, v87, 2.0, -v102
	v_mov_b32_e32 v87, 0x190
	v_cndmask_b32_e32 v87, 0, v87, vcc
	v_add_lshl_u32 v235, v60, v87, 3
	v_sub_f32_e32 v69, v77, v69
	v_sub_f32_e32 v70, v78, v70
	;; [unrolled: 1-line block ×3, first 2 shown]
	v_add_f32_e32 v80, v82, v80
	v_add_u32_e32 v237, 0x400, v235
	v_fma_f32 v78, v78, 2.0, -v70
	v_sub_f32_e32 v103, v111, v115
	ds_write2_b64 v235, v[71:72], v[75:76] offset1:100
	ds_write2_b64 v237, v[67:68], v[73:74] offset0:72 offset1:172
	ds_write2_b64 v239, v[69:70], v[79:80] offset0:72 offset1:172
	v_mad_u64_u32 v[70:71], s[8:9], v220, 24, s[10:11]
	v_fma_f32 v52, v111, 2.0, -v103
	v_sub_f32_e32 v56, v83, v56
	v_sub_f32_e32 v57, v84, v57
	v_add_f32_e32 v86, v93, v86
	v_sub_f32_e32 v58, v94, v58
	v_sub_f32_e32 v59, v95, v59
	v_add_f32_e32 v97, v99, v97
	;; [unrolled: 3-line block ×3, first 2 shown]
	v_fma_f32 v77, v77, 2.0, -v69
	v_fma_f32 v81, v81, 2.0, -v79
	;; [unrolled: 1-line block ×12, first 2 shown]
	ds_write2_b64 v236, v[77:78], v[81:82] offset1:100
	ds_write2_b64 v238, v[83:84], v[92:93] offset1:100
	ds_write2_b64 v241, v[56:57], v[85:86] offset0:72 offset1:172
	ds_write2_b64 v240, v[94:95], v[98:99] offset1:100
	ds_write2_b64 v243, v[58:59], v[96:97] offset0:72 offset1:172
	;; [unrolled: 2-line block ×3, first 2 shown]
	s_waitcnt lgkmcnt(0)
	s_barrier
	ds_read2_b64 v[80:83], v221 offset1:160
	ds_read2_b64 v[72:75], v229 offset1:160
	ds_read2_b64 v[58:61], v226 offset0:64 offset1:224
	ds_read2_b64 v[92:95], v224 offset0:64 offset1:224
	;; [unrolled: 1-line block ×3, first 2 shown]
	ds_read2_b64 v[66:69], v223 offset1:160
	ds_read2_b64 v[76:79], v230 offset0:64 offset1:224
	ds_read2_b64 v[96:99], v225 offset1:160
	ds_read2_b64 v[100:103], v227 offset1:160
	ds_read2_b64 v[84:87], v222 offset0:64 offset1:224
	global_load_dwordx2 v[188:189], v[70:71], off offset:3136
	global_load_dwordx4 v[52:55], v[70:71], off offset:3120
	s_waitcnt vmcnt(1) lgkmcnt(6)
	v_mul_f32_e32 v109, v94, v189
	s_waitcnt vmcnt(0)
	v_mul_f32_e32 v56, v75, v53
	v_fma_f32 v104, v74, v52, -v56
	v_mul_f32_e32 v105, v74, v53
	v_mul_f32_e32 v56, v59, v55
	v_add_co_u32_e32 v74, vcc, s5, v70
	v_fmac_f32_e32 v105, v75, v52
	v_fma_f32 v106, v58, v54, -v56
	v_mul_f32_e32 v56, v95, v189
	v_addc_co_u32_e32 v75, vcc, 0, v71, vcc
	v_fma_f32 v108, v94, v188, -v56
	v_add_co_u32_e32 v94, vcc, s6, v70
	v_mul_f32_e32 v107, v58, v55
	v_fmac_f32_e32 v109, v95, v188
	v_addc_co_u32_e32 v95, vcc, 0, v71, vcc
	v_fmac_f32_e32 v107, v59, v54
	global_load_dwordx4 v[56:59], v[94:95], off offset:2864
	global_load_dwordx2 v[186:187], v[74:75], off offset:16
	s_movk_i32 s5, 0x50
	v_cmp_gt_u16_e32 vcc, s5, v220
	s_movk_i32 s5, 0x13b0
	s_waitcnt vmcnt(1) lgkmcnt(5)
	v_mul_f32_e32 v74, v63, v57
	v_fma_f32 v75, v62, v56, -v74
	v_mul_f32_e32 v110, v62, v57
	v_mul_f32_e32 v62, v61, v59
	v_fma_f32 v111, v60, v58, -v62
	v_mul_f32_e32 v112, v60, v59
	s_waitcnt vmcnt(0) lgkmcnt(4)
	v_mul_f32_e32 v60, v67, v187
	v_fma_f32 v113, v66, v186, -v60
	v_add_u32_e32 v60, 0xffffffb0, v220
	v_cndmask_b32_e32 v74, v60, v90, vcc
	v_mul_i32_i24_e32 v60, 24, v74
	v_fmac_f32_e32 v112, v61, v58
	v_mul_hi_i32_i24_e32 v61, 24, v74
	v_add_co_u32_e32 v60, vcc, s10, v60
	v_addc_co_u32_e32 v61, vcc, v91, v61, vcc
	v_fmac_f32_e32 v110, v63, v56
	global_load_dwordx2 v[190:191], v[60:61], off offset:3136
	s_nop 0
	global_load_dwordx4 v[60:63], v[60:61], off offset:3120
	v_mul_f32_e32 v114, v66, v187
	v_fmac_f32_e32 v114, v67, v186
	s_waitcnt vmcnt(1)
	v_mul_f32_e32 v119, v68, v191
	s_waitcnt vmcnt(0)
	v_mul_f32_e32 v66, v65, v61
	v_fma_f32 v90, v64, v60, -v66
	v_mul_f32_e32 v115, v64, v61
	s_waitcnt lgkmcnt(2)
	v_mul_f32_e32 v64, v97, v63
	v_fma_f32 v116, v96, v62, -v64
	v_mul_f32_e32 v64, v69, v191
	v_fma_f32 v118, v68, v190, -v64
	v_add_co_u32_e32 v68, vcc, s5, v70
	v_fmac_f32_e32 v115, v65, v60
	v_fmac_f32_e32 v119, v69, v190
	v_addc_co_u32_e32 v69, vcc, 0, v71, vcc
	global_load_dwordx4 v[64:67], v[94:95], off offset:944
	global_load_dwordx2 v[192:193], v[68:69], off offset:16
	s_movk_i32 s5, 0x22b0
	v_mul_f32_e32 v117, v96, v63
	v_fmac_f32_e32 v117, v97, v62
	v_sub_f32_e32 v97, v75, v113
	v_fma_f32 v75, v75, 2.0, -v97
	v_sub_f32_e32 v96, v110, v114
	s_waitcnt vmcnt(1) lgkmcnt(1)
	v_mul_f32_e32 v68, v101, v65
	v_fma_f32 v120, v100, v64, -v68
	v_mul_f32_e32 v68, v99, v67
	v_fma_f32 v122, v98, v66, -v68
	s_waitcnt vmcnt(0) lgkmcnt(0)
	v_mul_f32_e32 v68, v85, v193
	v_fma_f32 v124, v84, v192, -v68
	v_mul_f32_e32 v125, v84, v193
	v_add_co_u32_e32 v84, vcc, s5, v70
	v_fmac_f32_e32 v125, v85, v192
	v_addc_co_u32_e32 v85, vcc, 0, v71, vcc
	v_add_co_u32_e32 v68, vcc, s4, v70
	v_addc_co_u32_e32 v69, vcc, 0, v71, vcc
	global_load_dwordx4 v[68:71], v[68:69], off offset:688
	s_nop 0
	global_load_dwordx2 v[194:195], v[84:85], off offset:16
	v_mul_f32_e32 v121, v100, v65
	v_mul_f32_e32 v123, v98, v67
	v_sub_f32_e32 v98, v82, v111
	v_fmac_f32_e32 v121, v101, v64
	v_fmac_f32_e32 v123, v99, v66
	v_fma_f32 v94, v82, 2.0, -v98
	v_sub_f32_e32 v82, v94, v75
	v_sub_f32_e32 v111, v79, v123
	v_fma_f32 v79, v79, 2.0, -v111
	v_sub_f32_e32 v99, v83, v112
	v_fma_f32 v95, v83, 2.0, -v99
	v_fma_f32 v83, v110, 2.0, -v96
	s_movk_i32 s5, 0x4f
	v_cmp_lt_u16_e32 vcc, s5, v220
	v_sub_f32_e32 v83, v95, v83
	v_sub_f32_e32 v96, v98, v96
	v_add_f32_e32 v97, v99, v97
	v_fma_f32 v94, v94, 2.0, -v82
	v_fma_f32 v95, v95, 2.0, -v83
	;; [unrolled: 1-line block ×4, first 2 shown]
	s_waitcnt vmcnt(0)
	s_barrier
	v_mul_f32_e32 v84, v103, v69
	v_mul_f32_e32 v127, v102, v69
	v_fma_f32 v126, v102, v68, -v84
	v_fmac_f32_e32 v127, v103, v68
	v_mul_f32_e32 v84, v93, v71
	v_mul_f32_e32 v197, v86, v195
	v_sub_f32_e32 v103, v90, v118
	v_fma_f32 v128, v92, v70, -v84
	v_mul_f32_e32 v84, v87, v195
	v_fmac_f32_e32 v197, v87, v194
	v_sub_f32_e32 v87, v104, v108
	v_fma_f32 v75, v90, 2.0, -v103
	v_sub_f32_e32 v90, v78, v122
	v_sub_f32_e32 v108, v121, v125
	v_mul_f32_e32 v129, v92, v71
	v_sub_f32_e32 v92, v80, v106
	v_fma_f32 v106, v78, 2.0, -v90
	v_fma_f32 v78, v121, 2.0, -v108
	v_fmac_f32_e32 v129, v93, v70
	v_fma_f32 v196, v86, v194, -v84
	v_sub_f32_e32 v93, v81, v107
	v_sub_f32_e32 v86, v105, v109
	;; [unrolled: 1-line block ×4, first 2 shown]
	v_fma_f32 v84, v80, 2.0, -v92
	v_fma_f32 v85, v81, 2.0, -v93
	;; [unrolled: 1-line block ×4, first 2 shown]
	v_sub_f32_e32 v104, v76, v116
	v_sub_f32_e32 v105, v77, v117
	v_sub_f32_e32 v102, v115, v119
	v_fma_f32 v107, v79, 2.0, -v78
	v_fma_f32 v110, v90, 2.0, -v108
	v_sub_f32_e32 v79, v72, v128
	v_sub_f32_e32 v90, v73, v129
	;; [unrolled: 1-line block ×3, first 2 shown]
	v_fma_f32 v100, v76, 2.0, -v104
	v_fma_f32 v77, v77, 2.0, -v105
	;; [unrolled: 1-line block ×5, first 2 shown]
	v_sub_f32_e32 v114, v79, v114
	v_sub_f32_e32 v76, v77, v76
	;; [unrolled: 1-line block ×3, first 2 shown]
	v_fma_f32 v112, v72, 2.0, -v79
	v_sub_f32_e32 v115, v126, v196
	v_fma_f32 v116, v79, 2.0, -v114
	v_mov_b32_e32 v79, 0x640
	v_sub_f32_e32 v86, v92, v86
	v_add_f32_e32 v87, v93, v87
	v_sub_f32_e32 v75, v100, v75
	v_fma_f32 v101, v77, 2.0, -v76
	v_fma_f32 v77, v120, 2.0, -v109
	v_add_f32_e32 v109, v111, v109
	v_fma_f32 v72, v126, 2.0, -v115
	v_add_f32_e32 v115, v90, v115
	v_cndmask_b32_e32 v79, 0, v79, vcc
	v_sub_f32_e32 v80, v84, v80
	v_sub_f32_e32 v81, v85, v81
	v_fma_f32 v92, v92, 2.0, -v86
	v_fma_f32 v93, v93, 2.0, -v87
	v_fma_f32 v100, v100, 2.0, -v75
	v_sub_f32_e32 v102, v104, v102
	v_add_f32_e32 v103, v105, v103
	v_fma_f32 v111, v111, 2.0, -v109
	v_fma_f32 v117, v90, 2.0, -v115
	v_add_lshl_u32 v246, v74, v79, 3
	v_fma_f32 v84, v84, 2.0, -v80
	v_fma_f32 v85, v85, 2.0, -v81
	;; [unrolled: 1-line block ×4, first 2 shown]
	ds_write_b64 v221, v[92:93] offset:3200
	ds_write_b64 v221, v[80:81] offset:6400
	;; [unrolled: 1-line block ×3, first 2 shown]
	ds_write2_b64 v221, v[84:85], v[94:95] offset1:160
	ds_write_b64 v221, v[98:99] offset:4480
	ds_write_b64 v221, v[82:83] offset:7680
	;; [unrolled: 1-line block ×3, first 2 shown]
	ds_write_b64 v246, v[100:101]
	ds_write_b64 v246, v[104:105] offset:3200
	ds_write_b64 v246, v[75:76] offset:6400
	;; [unrolled: 1-line block ×3, first 2 shown]
	ds_write2_b64 v245, v[110:111], v[116:117] offset0:32 offset1:192
	v_add_co_u32_e32 v116, vcc, s10, v221
	v_addc_co_u32_e32 v117, vcc, 0, v91, vcc
	v_sub_f32_e32 v77, v106, v77
	v_sub_f32_e32 v72, v112, v72
	;; [unrolled: 1-line block ×3, first 2 shown]
	v_add_co_u32_e32 v90, vcc, s7, v116
	v_fma_f32 v106, v106, 2.0, -v77
	v_fma_f32 v112, v112, 2.0, -v72
	;; [unrolled: 1-line block ×3, first 2 shown]
	v_addc_co_u32_e32 v91, vcc, 0, v117, vcc
	ds_write2_b64 v247, v[106:107], v[112:113] offset0:16 offset1:176
	ds_write2_b64 v248, v[77:78], v[72:73] offset0:48 offset1:208
	;; [unrolled: 1-line block ×3, first 2 shown]
	s_waitcnt lgkmcnt(0)
	s_barrier
	ds_read2_b64 v[72:75], v221 offset1:160
	ds_read2_b64 v[76:79], v226 offset0:64 offset1:224
	ds_read2_b64 v[80:83], v230 offset0:64 offset1:224
	ds_read2_b64 v[84:87], v225 offset1:160
	ds_read2_b64 v[92:95], v229 offset1:160
	ds_read2_b64 v[96:99], v224 offset0:64 offset1:224
	ds_read2_b64 v[100:103], v228 offset0:64 offset1:224
	ds_read2_b64 v[104:107], v223 offset1:160
	ds_read2_b64 v[108:111], v227 offset1:160
	ds_read2_b64 v[112:115], v222 offset0:64 offset1:224
	global_load_dwordx2 v[196:197], v[90:91], off offset:432
	global_load_dwordx2 v[198:199], v[90:91], off offset:1712
	;; [unrolled: 1-line block ×3, first 2 shown]
	s_waitcnt vmcnt(2) lgkmcnt(8)
	v_mul_f32_e32 v118, v77, v197
	v_fma_f32 v118, v76, v196, -v118
	v_mul_f32_e32 v119, v76, v197
	s_waitcnt vmcnt(1)
	v_mul_f32_e32 v76, v79, v199
	v_fma_f32 v120, v78, v198, -v76
	s_waitcnt vmcnt(0) lgkmcnt(6)
	v_mul_f32_e32 v76, v85, v201
	v_fma_f32 v90, v84, v200, -v76
	v_add_co_u32_e32 v76, vcc, s14, v116
	v_fmac_f32_e32 v119, v77, v196
	v_addc_co_u32_e32 v77, vcc, 0, v117, vcc
	global_load_dwordx2 v[202:203], v[76:77], off offset:176
	global_load_dwordx2 v[204:205], v[76:77], off offset:1456
	global_load_dwordx2 v[206:207], v[76:77], off offset:2736
	global_load_dwordx2 v[208:209], v[76:77], off offset:4016
	v_mul_f32_e32 v121, v78, v199
	v_fmac_f32_e32 v121, v79, v198
	v_mul_f32_e32 v91, v84, v201
	v_fmac_f32_e32 v91, v85, v200
	v_sub_f32_e32 v79, v75, v121
	v_fma_f32 v75, v75, 2.0, -v79
	v_sub_f32_e32 v84, v80, v90
	v_sub_f32_e32 v85, v81, v91
	v_fma_f32 v80, v80, 2.0, -v84
	v_fma_f32 v81, v81, 2.0, -v85
	s_waitcnt vmcnt(3)
	v_mul_f32_e32 v78, v87, v203
	v_fma_f32 v122, v86, v202, -v78
	s_waitcnt vmcnt(2) lgkmcnt(4)
	v_mul_f32_e32 v78, v97, v205
	v_fma_f32 v124, v96, v204, -v78
	v_mul_f32_e32 v96, v96, v205
	s_waitcnt vmcnt(1)
	v_mul_f32_e32 v78, v99, v207
	v_fmac_f32_e32 v96, v97, v204
	v_fma_f32 v97, v98, v206, -v78
	v_mul_f32_e32 v98, v98, v207
	s_waitcnt vmcnt(0) lgkmcnt(2)
	v_mul_f32_e32 v76, v105, v209
	v_fmac_f32_e32 v98, v99, v206
	v_fma_f32 v99, v104, v208, -v76
	v_add_co_u32_e32 v76, vcc, s15, v116
	v_addc_co_u32_e32 v77, vcc, 0, v117, vcc
	global_load_dwordx2 v[210:211], v[76:77], off offset:1200
	global_load_dwordx2 v[212:213], v[76:77], off offset:2480
	;; [unrolled: 1-line block ×3, first 2 shown]
	v_mul_f32_e32 v104, v104, v209
	v_fmac_f32_e32 v104, v105, v208
	v_mul_f32_e32 v123, v86, v203
	v_fmac_f32_e32 v123, v87, v202
	v_sub_f32_e32 v77, v73, v119
	v_fma_f32 v73, v73, 2.0, -v77
	v_sub_f32_e32 v86, v82, v122
	v_sub_f32_e32 v87, v83, v123
	;; [unrolled: 1-line block ×8, first 2 shown]
	v_add_co_u32_e32 v122, vcc, s2, v221
	v_fma_f32 v82, v82, 2.0, -v86
	v_fma_f32 v83, v83, 2.0, -v87
	;; [unrolled: 1-line block ×8, first 2 shown]
	s_waitcnt vmcnt(2)
	v_mul_f32_e32 v78, v107, v211
	v_fma_f32 v105, v106, v210, -v78
	v_mul_f32_e32 v106, v106, v211
	s_waitcnt vmcnt(1) lgkmcnt(0)
	v_mul_f32_e32 v78, v113, v213
	v_fmac_f32_e32 v106, v107, v210
	v_fma_f32 v107, v112, v212, -v78
	v_mul_f32_e32 v112, v112, v213
	s_waitcnt vmcnt(0)
	v_mul_f32_e32 v76, v115, v215
	v_fmac_f32_e32 v112, v113, v212
	v_fma_f32 v113, v114, v214, -v76
	v_mul_f32_e32 v114, v114, v215
	v_sub_f32_e32 v76, v72, v118
	v_fmac_f32_e32 v114, v115, v214
	v_fma_f32 v72, v72, 2.0, -v76
	v_sub_f32_e32 v78, v74, v120
	v_fma_f32 v74, v74, 2.0, -v78
	v_sub_f32_e32 v104, v102, v105
	v_sub_f32_e32 v105, v103, v106
	;; [unrolled: 1-line block ×6, first 2 shown]
	ds_write_b64 v221, v[76:77] offset:12800
	ds_write2_b64 v221, v[72:73], v[74:75] offset1:160
	v_mov_b32_e32 v72, s3
	v_fma_f32 v102, v102, 2.0, -v104
	v_fma_f32 v103, v103, 2.0, -v105
	v_fma_f32 v108, v108, 2.0, -v106
	v_fma_f32 v109, v109, 2.0, -v107
	v_fma_f32 v110, v110, 2.0, -v112
	v_fma_f32 v111, v111, 2.0, -v113
	ds_write2_b64 v249, v[78:79], v[84:85] offset0:32 offset1:192
	ds_write2_b64 v230, v[80:81], v[82:83] offset0:64 offset1:224
	;; [unrolled: 1-line block ×3, first 2 shown]
	ds_write2_b64 v229, v[92:93], v[94:95] offset1:160
	ds_write2_b64 v250, v[96:97], v[98:99] offset0:32 offset1:192
	ds_write2_b64 v228, v[100:101], v[102:103] offset0:64 offset1:224
	;; [unrolled: 1-line block ×3, first 2 shown]
	ds_write2_b64 v227, v[108:109], v[110:111] offset1:160
	ds_write_b64 v221, v[112:113] offset:24320
	s_waitcnt lgkmcnt(0)
	s_barrier
	v_addc_co_u32_e32 v123, vcc, 0, v72, vcc
	global_load_dwordx2 v[72:73], v221, s[2:3]
	ds_read2_b64 v[82:85], v221 offset1:160
	s_waitcnt vmcnt(0) lgkmcnt(0)
	v_mul_f32_e32 v74, v83, v73
	v_mul_f32_e32 v75, v82, v73
	v_fma_f32 v74, v82, v72, -v74
	v_fmac_f32_e32 v75, v83, v72
	global_load_dwordx2 v[72:73], v221, s[2:3] offset:2560
	ds_write_b64 v221, v[74:75]
	ds_read2_b64 v[90:93], v230 offset0:64 offset1:224
	ds_read2_b64 v[94:97], v229 offset1:160
	ds_read2_b64 v[98:101], v228 offset0:64 offset1:224
	ds_read2_b64 v[102:105], v227 offset1:160
	;; [unrolled: 2-line block ×3, first 2 shown]
	ds_read2_b64 v[76:79], v224 offset0:64 offset1:224
	s_waitcnt vmcnt(0) lgkmcnt(6)
	v_mul_f32_e32 v74, v91, v73
	v_fma_f32 v86, v90, v72, -v74
	v_mul_f32_e32 v87, v90, v73
	v_add_co_u32_e32 v90, vcc, s6, v122
	v_fmac_f32_e32 v87, v91, v72
	v_addc_co_u32_e32 v91, vcc, 0, v123, vcc
	global_load_dwordx2 v[72:73], v[90:91], off offset:1024
	s_waitcnt vmcnt(0) lgkmcnt(5)
	v_mul_f32_e32 v74, v95, v73
	v_mul_f32_e32 v115, v94, v73
	v_fma_f32 v114, v94, v72, -v74
	v_fmac_f32_e32 v115, v95, v72
	global_load_dwordx2 v[72:73], v[90:91], off offset:3584
	s_waitcnt vmcnt(0) lgkmcnt(4)
	v_mul_f32_e32 v74, v99, v73
	v_mul_f32_e32 v95, v98, v73
	v_fma_f32 v94, v98, v72, -v74
	v_fmac_f32_e32 v95, v99, v72
	global_load_dwordx2 v[72:73], v88, s[2:3]
	s_waitcnt vmcnt(0) lgkmcnt(3)
	v_mul_f32_e32 v74, v103, v73
	v_fma_f32 v98, v102, v72, -v74
	v_mul_f32_e32 v99, v102, v73
	v_add_co_u32_e32 v102, vcc, s7, v122
	v_fmac_f32_e32 v99, v103, v72
	v_addc_co_u32_e32 v103, vcc, 0, v123, vcc
	global_load_dwordx2 v[72:73], v[102:103], off offset:512
	s_waitcnt vmcnt(0) lgkmcnt(2)
	v_mul_f32_e32 v74, v107, v73
	v_mul_f32_e32 v117, v106, v73
	v_fma_f32 v116, v106, v72, -v74
	v_fmac_f32_e32 v117, v107, v72
	global_load_dwordx2 v[72:73], v[102:103], off offset:3072
	s_waitcnt vmcnt(0) lgkmcnt(1)
	v_mul_f32_e32 v74, v111, v73
	v_fma_f32 v106, v110, v72, -v74
	v_mul_f32_e32 v107, v110, v73
	v_add_co_u32_e32 v110, vcc, s14, v122
	v_fmac_f32_e32 v107, v111, v72
	v_addc_co_u32_e32 v111, vcc, 0, v123, vcc
	global_load_dwordx2 v[72:73], v[110:111], off offset:1536
	s_waitcnt vmcnt(0) lgkmcnt(0)
	v_mul_f32_e32 v74, v77, v73
	v_mul_f32_e32 v119, v76, v73
	v_fma_f32 v118, v76, v72, -v74
	v_fmac_f32_e32 v119, v77, v72
	global_load_dwordx2 v[72:73], v89, s[2:3]
	ds_read2_b64 v[74:77], v223 offset1:160
	s_waitcnt vmcnt(0) lgkmcnt(0)
	v_mul_f32_e32 v80, v75, v73
	v_fma_f32 v88, v74, v72, -v80
	v_add_co_u32_e32 v80, vcc, s15, v122
	v_addc_co_u32_e32 v81, vcc, 0, v123, vcc
	global_load_dwordx2 v[120:121], v[80:81], off offset:2560
	v_mul_f32_e32 v89, v74, v73
	v_fmac_f32_e32 v89, v75, v72
	ds_read2_b64 v[72:75], v222 offset0:64 offset1:224
	s_waitcnt vmcnt(0) lgkmcnt(0)
	v_mul_f32_e32 v82, v73, v121
	v_mul_f32_e32 v83, v72, v121
	v_fma_f32 v82, v72, v120, -v82
	v_fmac_f32_e32 v83, v73, v120
	global_load_dwordx2 v[72:73], v221, s[2:3] offset:1280
	s_waitcnt vmcnt(0)
	v_mul_f32_e32 v120, v85, v73
	v_mul_f32_e32 v121, v84, v73
	v_fma_f32 v120, v84, v72, -v120
	v_fmac_f32_e32 v121, v85, v72
	v_add_u32_e32 v72, 0x400, v221
	ds_write2_b64 v72, v[120:121], v[86:87] offset0:32 offset1:192
	global_load_dwordx2 v[72:73], v221, s[2:3] offset:3840
	s_mov_b32 s2, 0x47ae147b
	s_mov_b32 s3, 0x3f347ae1
	s_waitcnt vmcnt(0)
	v_mul_f32_e32 v84, v93, v73
	v_mul_f32_e32 v85, v92, v73
	v_fma_f32 v84, v92, v72, -v84
	v_fmac_f32_e32 v85, v93, v72
	v_add_u32_e32 v72, 0xe00, v221
	ds_write2_b64 v72, v[84:85], v[114:115] offset0:32 offset1:192
	global_load_dwordx2 v[72:73], v[90:91], off offset:2304
	s_waitcnt vmcnt(0)
	v_mul_f32_e32 v84, v97, v73
	v_mul_f32_e32 v85, v96, v73
	v_fma_f32 v84, v96, v72, -v84
	v_fmac_f32_e32 v85, v97, v72
	v_add_u32_e32 v72, 0x1800, v221
	ds_write2_b64 v72, v[84:85], v[94:95] offset0:32 offset1:192
	v_add_co_u32_e32 v72, vcc, s4, v122
	v_addc_co_u32_e32 v73, vcc, 0, v123, vcc
	global_load_dwordx2 v[84:85], v[72:73], off offset:768
	s_waitcnt vmcnt(0)
	v_mul_f32_e32 v86, v101, v85
	global_load_dwordx2 v[72:73], v[72:73], off offset:3328
	v_mul_f32_e32 v87, v100, v85
	v_fma_f32 v86, v100, v84, -v86
	v_fmac_f32_e32 v87, v101, v84
	v_add_u32_e32 v84, 0x2200, v221
	ds_write2_b64 v84, v[86:87], v[98:99] offset0:32 offset1:192
	s_waitcnt vmcnt(0)
	v_mul_f32_e32 v84, v105, v73
	v_mul_f32_e32 v85, v104, v73
	v_fma_f32 v84, v104, v72, -v84
	v_fmac_f32_e32 v85, v105, v72
	v_add_u32_e32 v72, 0x2c00, v221
	ds_write2_b64 v72, v[84:85], v[116:117] offset0:32 offset1:192
	global_load_dwordx2 v[72:73], v[102:103], off offset:1792
	s_waitcnt vmcnt(0)
	v_mul_f32_e32 v84, v109, v73
	v_mul_f32_e32 v85, v108, v73
	v_fma_f32 v84, v108, v72, -v84
	v_fmac_f32_e32 v85, v109, v72
	global_load_dwordx2 v[72:73], v[110:111], off offset:256
	ds_write2_b64 v249, v[84:85], v[106:107] offset0:32 offset1:192
	s_waitcnt vmcnt(0)
	v_mul_f32_e32 v84, v113, v73
	v_mul_f32_e32 v85, v112, v73
	v_fma_f32 v84, v112, v72, -v84
	v_fmac_f32_e32 v85, v113, v72
	global_load_dwordx2 v[72:73], v[110:111], off offset:2816
	ds_write2_b64 v245, v[84:85], v[118:119] offset0:32 offset1:192
	;; [unrolled: 7-line block ×4, first 2 shown]
	s_waitcnt vmcnt(0)
	v_mul_f32_e32 v76, v75, v73
	v_mul_f32_e32 v77, v74, v73
	v_fma_f32 v76, v74, v72, -v76
	v_fmac_f32_e32 v77, v75, v72
	ds_write_b64 v221, v[76:77] offset:24320
	s_waitcnt lgkmcnt(0)
	s_barrier
	ds_read2_b64 v[90:93], v221 offset1:160
	ds_read2_b64 v[94:97], v230 offset0:64 offset1:224
	ds_read2_b64 v[114:117], v229 offset1:160
	ds_read2_b64 v[106:109], v228 offset0:64 offset1:224
	;; [unrolled: 2-line block ×5, first 2 shown]
	s_waitcnt lgkmcnt(5)
	v_sub_f32_e32 v77, v114, v122
	s_waitcnt lgkmcnt(3)
	v_add_f32_e32 v73, v122, v118
	v_fma_f32 v73, -0.5, v73, v90
	s_waitcnt lgkmcnt(1)
	v_sub_f32_e32 v74, v115, v127
	v_mov_b32_e32 v75, v73
	v_fmac_f32_e32 v75, 0xbf737871, v74
	v_sub_f32_e32 v76, v123, v119
	v_sub_f32_e32 v78, v126, v118
	v_fmac_f32_e32 v73, 0x3f737871, v74
	v_fmac_f32_e32 v75, 0xbf167918, v76
	v_add_f32_e32 v77, v77, v78
	v_fmac_f32_e32 v73, 0x3f167918, v76
	v_fmac_f32_e32 v75, 0x3e9e377a, v77
	;; [unrolled: 1-line block ×3, first 2 shown]
	v_add_f32_e32 v77, v114, v126
	v_fma_f32 v79, -0.5, v77, v90
	v_mov_b32_e32 v81, v79
	v_fmac_f32_e32 v81, 0x3f737871, v76
	v_fmac_f32_e32 v79, 0xbf737871, v76
	v_fmac_f32_e32 v81, 0xbf167918, v74
	v_fmac_f32_e32 v79, 0x3f167918, v74
	v_add_f32_e32 v74, v91, v115
	v_add_f32_e32 v74, v74, v123
	;; [unrolled: 1-line block ×5, first 2 shown]
	v_sub_f32_e32 v77, v122, v114
	v_sub_f32_e32 v78, v118, v126
	v_fma_f32 v252, -0.5, v74, v91
	v_add_f32_e32 v72, v90, v114
	v_add_f32_e32 v77, v77, v78
	v_sub_f32_e32 v74, v114, v126
	v_mov_b32_e32 v114, v252
	v_fmac_f32_e32 v81, 0x3e9e377a, v77
	v_fmac_f32_e32 v79, 0x3e9e377a, v77
	;; [unrolled: 1-line block ×3, first 2 shown]
	v_sub_f32_e32 v76, v122, v118
	v_sub_f32_e32 v77, v115, v123
	;; [unrolled: 1-line block ×3, first 2 shown]
	v_fmac_f32_e32 v252, 0xbf737871, v74
	v_fmac_f32_e32 v114, 0x3f167918, v76
	v_add_f32_e32 v77, v77, v78
	v_fmac_f32_e32 v252, 0xbf167918, v76
	v_add_f32_e32 v72, v72, v122
	v_fmac_f32_e32 v114, 0x3e9e377a, v77
	v_fmac_f32_e32 v252, 0x3e9e377a, v77
	v_add_f32_e32 v77, v115, v127
	v_add_f32_e32 v72, v72, v118
	v_fma_f32 v118, -0.5, v77, v91
	v_mov_b32_e32 v122, v118
	v_fmac_f32_e32 v122, 0xbf737871, v76
	v_sub_f32_e32 v77, v123, v115
	v_sub_f32_e32 v78, v119, v127
	v_fmac_f32_e32 v118, 0x3f737871, v76
	v_fmac_f32_e32 v122, 0x3f167918, v74
	v_add_f32_e32 v77, v77, v78
	v_fmac_f32_e32 v118, 0xbf167918, v74
	v_add_f32_e32 v76, v110, v98
	v_fmac_f32_e32 v122, 0x3e9e377a, v77
	v_fmac_f32_e32 v118, 0x3e9e377a, v77
	v_fma_f32 v77, -0.5, v76, v94
	s_waitcnt lgkmcnt(0)
	v_sub_f32_e32 v76, v107, v103
	v_mov_b32_e32 v78, v77
	v_fmac_f32_e32 v78, 0xbf737871, v76
	v_sub_f32_e32 v80, v111, v99
	v_sub_f32_e32 v82, v106, v110
	;; [unrolled: 1-line block ×3, first 2 shown]
	v_fmac_f32_e32 v77, 0x3f737871, v76
	v_fmac_f32_e32 v78, 0xbf167918, v80
	v_add_f32_e32 v82, v82, v84
	v_fmac_f32_e32 v77, 0x3f167918, v80
	v_fmac_f32_e32 v78, 0x3e9e377a, v82
	v_fmac_f32_e32 v77, 0x3e9e377a, v82
	v_add_f32_e32 v82, v106, v102
	v_fma_f32 v82, -0.5, v82, v94
	v_mov_b32_e32 v85, v82
	v_fmac_f32_e32 v85, 0x3f737871, v80
	v_fmac_f32_e32 v82, 0xbf737871, v80
	;; [unrolled: 1-line block ×4, first 2 shown]
	v_add_f32_e32 v76, v95, v107
	v_add_f32_e32 v76, v76, v111
	;; [unrolled: 1-line block ×6, first 2 shown]
	v_sub_f32_e32 v84, v110, v106
	v_sub_f32_e32 v86, v98, v102
	v_fma_f32 v80, -0.5, v76, v95
	v_add_f32_e32 v84, v84, v86
	v_sub_f32_e32 v76, v106, v102
	v_mov_b32_e32 v87, v80
	v_fmac_f32_e32 v85, 0x3e9e377a, v84
	v_fmac_f32_e32 v82, 0x3e9e377a, v84
	;; [unrolled: 1-line block ×3, first 2 shown]
	v_sub_f32_e32 v84, v110, v98
	v_sub_f32_e32 v86, v107, v111
	;; [unrolled: 1-line block ×3, first 2 shown]
	v_fmac_f32_e32 v80, 0xbf737871, v76
	v_fmac_f32_e32 v87, 0x3f167918, v84
	v_add_f32_e32 v86, v86, v88
	v_fmac_f32_e32 v80, 0xbf167918, v84
	v_fmac_f32_e32 v87, 0x3e9e377a, v86
	;; [unrolled: 1-line block ×3, first 2 shown]
	v_add_f32_e32 v86, v107, v103
	v_add_f32_e32 v74, v74, v110
	v_fma_f32 v95, -0.5, v86, v95
	v_add_f32_e32 v74, v74, v98
	v_mov_b32_e32 v98, v95
	v_sub_f32_e32 v86, v111, v107
	v_sub_f32_e32 v88, v99, v103
	v_fmac_f32_e32 v95, 0x3f737871, v84
	v_add_f32_e32 v86, v86, v88
	v_fmac_f32_e32 v95, 0xbf167918, v76
	v_fmac_f32_e32 v95, 0x3e9e377a, v86
	;; [unrolled: 1-line block ×3, first 2 shown]
	v_mul_f32_e32 v103, 0xbf737871, v95
	v_add_f32_e32 v72, v72, v126
	v_add_f32_e32 v74, v74, v102
	v_fmac_f32_e32 v98, 0x3f167918, v76
	v_mul_f32_e32 v99, 0xbf167918, v87
	v_fmac_f32_e32 v103, 0xbe9e377a, v82
	v_fmac_f32_e32 v98, 0x3e9e377a, v86
	v_add_f32_e32 v88, v72, v74
	v_fmac_f32_e32 v99, 0x3f4f1bbd, v78
	v_add_f32_e32 v86, v79, v103
	v_add_f32_e32 v89, v83, v94
	v_mul_f32_e32 v107, 0x3f167918, v78
	v_sub_f32_e32 v78, v72, v74
	v_sub_f32_e32 v72, v79, v103
	;; [unrolled: 1-line block ×3, first 2 shown]
	v_add_f32_e32 v94, v92, v116
	v_mul_f32_e32 v102, 0xbf737871, v98
	v_mul_f32_e32 v98, 0x3e9e377a, v98
	v_add_f32_e32 v94, v94, v124
	v_fmac_f32_e32 v98, 0x3f737871, v85
	v_add_f32_e32 v94, v94, v120
	v_fmac_f32_e32 v102, 0x3e9e377a, v85
	v_add_f32_e32 v85, v122, v98
	v_sub_f32_e32 v83, v122, v98
	v_add_f32_e32 v98, v94, v128
	v_add_f32_e32 v94, v124, v120
	;; [unrolled: 1-line block ×3, first 2 shown]
	v_mul_f32_e32 v106, 0xbf167918, v80
	v_mul_f32_e32 v95, 0xbe9e377a, v95
	;; [unrolled: 1-line block ×3, first 2 shown]
	v_sub_f32_e32 v80, v75, v99
	v_fma_f32 v99, -0.5, v94, v92
	v_add_f32_e32 v84, v81, v102
	v_fmac_f32_e32 v106, 0xbf4f1bbd, v77
	v_fmac_f32_e32 v95, 0x3f737871, v82
	v_sub_f32_e32 v82, v81, v102
	v_sub_f32_e32 v94, v117, v129
	v_mov_b32_e32 v102, v99
	v_add_f32_e32 v76, v73, v106
	v_fmac_f32_e32 v107, 0x3f4f1bbd, v87
	v_add_f32_e32 v87, v118, v95
	v_sub_f32_e32 v74, v73, v106
	v_sub_f32_e32 v73, v118, v95
	v_fmac_f32_e32 v102, 0xbf737871, v94
	v_sub_f32_e32 v95, v125, v121
	v_sub_f32_e32 v103, v116, v124
	;; [unrolled: 1-line block ×3, first 2 shown]
	v_fmac_f32_e32 v99, 0x3f737871, v94
	v_fmac_f32_e32 v102, 0xbf167918, v95
	v_add_f32_e32 v103, v103, v106
	v_fmac_f32_e32 v99, 0x3f167918, v95
	v_fmac_f32_e32 v102, 0x3e9e377a, v103
	;; [unrolled: 1-line block ×3, first 2 shown]
	v_add_f32_e32 v103, v116, v128
	v_fma_f32 v92, -0.5, v103, v92
	v_mov_b32_e32 v103, v92
	v_fmac_f32_e32 v103, 0x3f737871, v95
	v_fmac_f32_e32 v92, 0xbf737871, v95
	;; [unrolled: 1-line block ×4, first 2 shown]
	v_add_f32_e32 v94, v93, v117
	v_add_f32_e32 v94, v94, v125
	;; [unrolled: 1-line block ×4, first 2 shown]
	v_sub_f32_e32 v81, v114, v107
	v_add_f32_e32 v114, v94, v129
	v_add_f32_e32 v94, v125, v121
	v_sub_f32_e32 v106, v124, v116
	v_sub_f32_e32 v107, v120, v128
	v_fma_f32 v115, -0.5, v94, v93
	v_add_f32_e32 v106, v106, v107
	v_sub_f32_e32 v94, v116, v128
	v_mov_b32_e32 v116, v115
	v_fmac_f32_e32 v103, 0x3e9e377a, v106
	v_fmac_f32_e32 v92, 0x3e9e377a, v106
	v_fmac_f32_e32 v116, 0x3f737871, v94
	v_sub_f32_e32 v95, v124, v120
	v_sub_f32_e32 v106, v117, v125
	;; [unrolled: 1-line block ×3, first 2 shown]
	v_fmac_f32_e32 v115, 0xbf737871, v94
	v_fmac_f32_e32 v116, 0x3f167918, v95
	v_add_f32_e32 v106, v106, v107
	v_fmac_f32_e32 v115, 0xbf167918, v95
	v_fmac_f32_e32 v116, 0x3e9e377a, v106
	;; [unrolled: 1-line block ×3, first 2 shown]
	v_add_f32_e32 v106, v117, v129
	v_fmac_f32_e32 v93, -0.5, v106
	v_mov_b32_e32 v118, v93
	v_fmac_f32_e32 v118, 0xbf737871, v95
	v_fmac_f32_e32 v93, 0x3f737871, v95
	;; [unrolled: 1-line block ×4, first 2 shown]
	v_add_f32_e32 v94, v96, v108
	v_add_f32_e32 v94, v94, v112
	;; [unrolled: 1-line block ×3, first 2 shown]
	v_sub_f32_e32 v106, v125, v117
	v_add_f32_e32 v117, v94, v104
	v_add_f32_e32 v94, v112, v100
	v_sub_f32_e32 v107, v121, v129
	v_fma_f32 v95, -0.5, v94, v96
	v_fmac_f32_e32 v110, 0x3f167918, v77
	v_add_f32_e32 v106, v106, v107
	v_sub_f32_e32 v94, v109, v105
	v_mov_b32_e32 v107, v95
	v_add_f32_e32 v77, v252, v110
	v_sub_f32_e32 v75, v252, v110
	v_fmac_f32_e32 v118, 0x3e9e377a, v106
	v_fmac_f32_e32 v93, 0x3e9e377a, v106
	;; [unrolled: 1-line block ×3, first 2 shown]
	v_sub_f32_e32 v106, v113, v101
	v_sub_f32_e32 v110, v108, v112
	;; [unrolled: 1-line block ×3, first 2 shown]
	v_fmac_f32_e32 v95, 0x3f737871, v94
	v_fmac_f32_e32 v107, 0xbf167918, v106
	v_add_f32_e32 v110, v110, v111
	v_fmac_f32_e32 v95, 0x3f167918, v106
	v_fmac_f32_e32 v107, 0x3e9e377a, v110
	;; [unrolled: 1-line block ×3, first 2 shown]
	v_add_f32_e32 v110, v108, v104
	v_fma_f32 v96, -0.5, v110, v96
	v_mov_b32_e32 v119, v96
	v_fmac_f32_e32 v119, 0x3f737871, v106
	v_fmac_f32_e32 v96, 0xbf737871, v106
	;; [unrolled: 1-line block ×4, first 2 shown]
	v_add_f32_e32 v94, v97, v109
	v_add_f32_e32 v94, v94, v113
	v_add_f32_e32 v94, v94, v101
	v_add_f32_e32 v120, v94, v105
	v_add_f32_e32 v94, v113, v101
	v_fma_f32 v121, -0.5, v94, v97
	v_sub_f32_e32 v111, v100, v104
	v_sub_f32_e32 v94, v108, v104
	v_mov_b32_e32 v104, v121
	v_sub_f32_e32 v110, v112, v108
	v_fmac_f32_e32 v104, 0x3f737871, v94
	v_sub_f32_e32 v100, v112, v100
	v_sub_f32_e32 v106, v109, v113
	;; [unrolled: 1-line block ×3, first 2 shown]
	v_fmac_f32_e32 v121, 0xbf737871, v94
	v_fmac_f32_e32 v104, 0x3f167918, v100
	v_add_f32_e32 v106, v106, v108
	v_fmac_f32_e32 v121, 0xbf167918, v100
	v_fmac_f32_e32 v104, 0x3e9e377a, v106
	;; [unrolled: 1-line block ×3, first 2 shown]
	v_add_f32_e32 v106, v109, v105
	v_fmac_f32_e32 v97, -0.5, v106
	v_mov_b32_e32 v122, v97
	v_fmac_f32_e32 v122, 0xbf737871, v100
	v_sub_f32_e32 v106, v113, v109
	v_sub_f32_e32 v101, v101, v105
	v_fmac_f32_e32 v122, 0x3f167918, v94
	v_add_f32_e32 v101, v106, v101
	v_fmac_f32_e32 v97, 0x3f737871, v100
	v_add_f32_e32 v110, v110, v111
	v_fmac_f32_e32 v122, 0x3e9e377a, v101
	v_fmac_f32_e32 v97, 0xbf167918, v94
	;; [unrolled: 1-line block ×4, first 2 shown]
	v_mul_f32_e32 v101, 0xbf737871, v122
	v_mul_f32_e32 v122, 0x3e9e377a, v122
	v_fmac_f32_e32 v96, 0x3e9e377a, v110
	v_mul_f32_e32 v100, 0xbf167918, v104
	v_fmac_f32_e32 v101, 0x3e9e377a, v119
	v_mul_f32_e32 v105, 0xbf737871, v97
	v_mul_f32_e32 v123, 0xbf167918, v121
	v_mul_f32_e32 v124, 0x3f167918, v107
	v_fmac_f32_e32 v122, 0x3f737871, v119
	v_mul_f32_e32 v119, 0xbe9e377a, v97
	v_mul_f32_e32 v121, 0xbf4f1bbd, v121
	v_fmac_f32_e32 v100, 0x3f4f1bbd, v107
	v_fmac_f32_e32 v105, 0xbe9e377a, v96
	;; [unrolled: 1-line block ×6, first 2 shown]
	v_add_f32_e32 v110, v98, v117
	v_add_f32_e32 v112, v102, v100
	;; [unrolled: 1-line block ×9, first 2 shown]
	v_sub_f32_e32 v96, v98, v117
	v_sub_f32_e32 v102, v102, v100
	;; [unrolled: 1-line block ×10, first 2 shown]
	v_add_f32_e32 v113, v116, v124
	s_barrier
	ds_write_b128 v234, v[88:91]
	ds_write_b128 v234, v[84:87] offset:16
	ds_write_b128 v234, v[76:79] offset:32
	;; [unrolled: 1-line block ×4, first 2 shown]
	ds_write_b128 v231, v[110:113]
	ds_write_b128 v231, v[106:109] offset:16
	ds_write_b128 v231, v[94:97] offset:32
	;; [unrolled: 1-line block ×4, first 2 shown]
	s_waitcnt lgkmcnt(0)
	s_barrier
	ds_read2_b64 v[72:75], v221 offset1:160
	ds_read2_b64 v[77:80], v230 offset0:64 offset1:224
	ds_read2_b64 v[81:84], v229 offset1:160
	ds_read2_b64 v[85:88], v228 offset0:64 offset1:224
	;; [unrolled: 2-line block ×5, first 2 shown]
	s_waitcnt lgkmcnt(8)
	v_mul_f32_e32 v76, v17, v78
	v_mul_f32_e32 v17, v17, v77
	v_fmac_f32_e32 v76, v16, v77
	v_fma_f32 v17, v16, v78, -v17
	s_waitcnt lgkmcnt(7)
	v_mul_f32_e32 v78, v19, v82
	v_mul_f32_e32 v16, v19, v81
	v_fmac_f32_e32 v78, v18, v81
	v_fma_f32 v81, v18, v82, -v16
	s_waitcnt lgkmcnt(6)
	v_mul_f32_e32 v82, v9, v86
	v_fmac_f32_e32 v82, v8, v85
	v_mul_f32_e32 v9, v9, v85
	s_waitcnt lgkmcnt(5)
	v_mul_f32_e32 v85, v11, v90
	v_fma_f32 v16, v8, v86, -v9
	v_fmac_f32_e32 v85, v10, v89
	v_mul_f32_e32 v8, v11, v89
	s_waitcnt lgkmcnt(4)
	v_mul_f32_e32 v89, v5, v94
	v_mul_f32_e32 v5, v5, v93
	v_fma_f32 v86, v10, v90, -v8
	v_fma_f32 v18, v4, v94, -v5
	s_waitcnt lgkmcnt(3)
	v_mul_f32_e32 v90, v7, v98
	s_waitcnt lgkmcnt(2)
	v_mul_f32_e32 v94, v1, v102
	v_mul_f32_e32 v1, v1, v101
	v_fmac_f32_e32 v89, v4, v93
	v_fmac_f32_e32 v90, v6, v97
	v_mul_f32_e32 v4, v7, v97
	v_fmac_f32_e32 v94, v0, v101
	v_fma_f32 v19, v0, v102, -v1
	s_waitcnt lgkmcnt(1)
	v_mul_f32_e32 v97, v3, v106
	v_mul_f32_e32 v0, v3, v105
	v_fma_f32 v93, v6, v98, -v4
	v_fmac_f32_e32 v97, v2, v105
	v_fma_f32 v98, v2, v106, -v0
	v_mul_f32_e32 v2, v31, v83
	v_fma_f32 v5, v30, v84, -v2
	v_mul_f32_e32 v3, v25, v88
	v_mul_f32_e32 v2, v25, v87
	v_fmac_f32_e32 v3, v24, v87
	v_fma_f32 v2, v24, v88, -v2
	v_mul_f32_e32 v24, v23, v100
	v_mul_f32_e32 v8, v23, v99
	v_fmac_f32_e32 v24, v22, v99
	;; [unrolled: 4-line block ×3, first 2 shown]
	v_fma_f32 v8, v12, v104, -v8
	v_mul_f32_e32 v23, v15, v108
	v_mul_f32_e32 v12, v15, v107
	v_add_f32_e32 v15, v72, v78
	v_add_f32_e32 v15, v15, v85
	;; [unrolled: 1-line block ×3, first 2 shown]
	v_mul_f32_e32 v4, v27, v91
	v_add_f32_e32 v25, v15, v97
	v_add_f32_e32 v15, v85, v90
	s_waitcnt lgkmcnt(0)
	v_mul_f32_e32 v0, v173, v109
	v_mul_f32_e32 v11, v27, v92
	v_fma_f32 v9, v26, v92, -v4
	v_mul_f32_e32 v6, v21, v96
	v_mul_f32_e32 v4, v21, v95
	v_fma_f32 v15, -0.5, v15, v72
	v_fma_f32 v77, v172, v110, -v0
	v_mul_f32_e32 v0, v29, v80
	v_mul_f32_e32 v1, v29, v79
	v_fmac_f32_e32 v11, v26, v91
	v_fmac_f32_e32 v6, v20, v95
	v_fma_f32 v4, v20, v96, -v4
	v_sub_f32_e32 v20, v81, v98
	v_mov_b32_e32 v26, v15
	v_fmac_f32_e32 v0, v28, v79
	v_fma_f32 v1, v28, v80, -v1
	v_fmac_f32_e32 v26, 0xbf737871, v20
	v_sub_f32_e32 v21, v86, v93
	v_sub_f32_e32 v27, v78, v85
	;; [unrolled: 1-line block ×3, first 2 shown]
	v_fmac_f32_e32 v15, 0x3f737871, v20
	v_fmac_f32_e32 v26, 0xbf167918, v21
	v_add_f32_e32 v27, v27, v28
	v_fmac_f32_e32 v15, 0x3f167918, v21
	v_fmac_f32_e32 v26, 0x3e9e377a, v27
	;; [unrolled: 1-line block ×3, first 2 shown]
	v_add_f32_e32 v27, v78, v97
	v_fma_f32 v27, -0.5, v27, v72
	v_mov_b32_e32 v28, v27
	v_fmac_f32_e32 v28, 0x3f737871, v21
	v_fmac_f32_e32 v27, 0xbf737871, v21
	v_mul_f32_e32 v7, v31, v84
	v_fmac_f32_e32 v28, 0xbf167918, v20
	v_fmac_f32_e32 v27, 0x3f167918, v20
	v_add_f32_e32 v20, v73, v81
	v_fmac_f32_e32 v7, v30, v83
	v_sub_f32_e32 v29, v85, v78
	v_sub_f32_e32 v30, v90, v97
	v_add_f32_e32 v20, v20, v86
	v_add_f32_e32 v29, v29, v30
	;; [unrolled: 1-line block ×3, first 2 shown]
	v_fmac_f32_e32 v28, 0x3e9e377a, v29
	v_fmac_f32_e32 v27, 0x3e9e377a, v29
	v_add_f32_e32 v29, v20, v98
	v_add_f32_e32 v20, v86, v93
	v_fma_f32 v83, -0.5, v20, v73
	v_sub_f32_e32 v20, v78, v97
	v_mov_b32_e32 v31, v83
	v_fmac_f32_e32 v31, 0x3f737871, v20
	v_sub_f32_e32 v21, v85, v90
	v_sub_f32_e32 v30, v81, v86
	;; [unrolled: 1-line block ×3, first 2 shown]
	v_fmac_f32_e32 v83, 0xbf737871, v20
	v_fmac_f32_e32 v31, 0x3f167918, v21
	v_add_f32_e32 v30, v30, v72
	v_fmac_f32_e32 v83, 0xbf167918, v21
	v_fmac_f32_e32 v31, 0x3e9e377a, v30
	;; [unrolled: 1-line block ×3, first 2 shown]
	v_add_f32_e32 v30, v81, v98
	v_fma_f32 v84, -0.5, v30, v73
	v_mov_b32_e32 v73, v84
	v_fmac_f32_e32 v73, 0xbf737871, v21
	v_fmac_f32_e32 v84, 0x3f737871, v21
	;; [unrolled: 1-line block ×4, first 2 shown]
	v_add_f32_e32 v20, v76, v82
	v_mul_f32_e32 v101, v173, v110
	v_sub_f32_e32 v30, v86, v81
	v_sub_f32_e32 v72, v93, v98
	v_add_f32_e32 v20, v20, v89
	v_fmac_f32_e32 v101, v172, v109
	v_add_f32_e32 v30, v30, v72
	v_add_f32_e32 v20, v20, v94
	v_fmac_f32_e32 v73, 0x3e9e377a, v30
	v_fmac_f32_e32 v84, 0x3e9e377a, v30
	v_add_f32_e32 v30, v20, v101
	v_add_f32_e32 v20, v89, v94
	v_fma_f32 v72, -0.5, v20, v76
	v_sub_f32_e32 v20, v16, v77
	v_mov_b32_e32 v21, v72
	v_fmac_f32_e32 v21, 0xbf737871, v20
	v_sub_f32_e32 v78, v18, v19
	v_sub_f32_e32 v79, v82, v89
	;; [unrolled: 1-line block ×3, first 2 shown]
	v_fmac_f32_e32 v72, 0x3f737871, v20
	v_fmac_f32_e32 v21, 0xbf167918, v78
	v_add_f32_e32 v79, v79, v80
	v_fmac_f32_e32 v72, 0x3f167918, v78
	v_fmac_f32_e32 v21, 0x3e9e377a, v79
	v_fmac_f32_e32 v72, 0x3e9e377a, v79
	v_add_f32_e32 v79, v82, v101
	v_fmac_f32_e32 v76, -0.5, v79
	v_mov_b32_e32 v85, v76
	v_fmac_f32_e32 v85, 0x3f737871, v78
	v_fmac_f32_e32 v76, 0xbf737871, v78
	;; [unrolled: 1-line block ×4, first 2 shown]
	v_add_f32_e32 v20, v17, v16
	v_add_f32_e32 v20, v20, v18
	;; [unrolled: 1-line block ×5, first 2 shown]
	v_sub_f32_e32 v79, v89, v82
	v_sub_f32_e32 v80, v94, v101
	v_fma_f32 v87, -0.5, v20, v17
	v_add_f32_e32 v79, v79, v80
	v_sub_f32_e32 v20, v82, v101
	v_mov_b32_e32 v81, v87
	v_fmac_f32_e32 v85, 0x3e9e377a, v79
	v_fmac_f32_e32 v76, 0x3e9e377a, v79
	;; [unrolled: 1-line block ×3, first 2 shown]
	v_sub_f32_e32 v78, v89, v94
	v_sub_f32_e32 v79, v16, v18
	v_sub_f32_e32 v80, v77, v19
	v_fmac_f32_e32 v87, 0xbf737871, v20
	v_fmac_f32_e32 v81, 0x3f167918, v78
	v_add_f32_e32 v79, v79, v80
	v_fmac_f32_e32 v87, 0xbf167918, v78
	v_fmac_f32_e32 v81, 0x3e9e377a, v79
	v_fmac_f32_e32 v87, 0x3e9e377a, v79
	v_add_f32_e32 v79, v16, v77
	v_fmac_f32_e32 v17, -0.5, v79
	v_mov_b32_e32 v82, v17
	v_fmac_f32_e32 v82, 0xbf737871, v78
	v_sub_f32_e32 v16, v18, v16
	v_sub_f32_e32 v18, v19, v77
	v_fmac_f32_e32 v82, 0x3f167918, v20
	v_add_f32_e32 v16, v16, v18
	v_fmac_f32_e32 v82, 0x3e9e377a, v16
	v_fmac_f32_e32 v17, 0x3f737871, v78
	v_mul_f32_e32 v88, 0xbf737871, v82
	v_mul_f32_e32 v90, 0xbf167918, v87
	v_fmac_f32_e32 v17, 0xbf167918, v20
	v_fmac_f32_e32 v88, 0x3e9e377a, v85
	;; [unrolled: 1-line block ×3, first 2 shown]
	v_mul_f32_e32 v87, 0xbf4f1bbd, v87
	v_fmac_f32_e32 v17, 0x3e9e377a, v16
	v_add_f32_e32 v18, v28, v88
	v_add_f32_e32 v16, v15, v90
	v_fmac_f32_e32 v87, 0x3f167918, v72
	v_sub_f32_e32 v72, v28, v88
	v_sub_f32_e32 v28, v15, v90
	v_add_f32_e32 v15, v74, v7
	v_mul_f32_e32 v82, 0x3e9e377a, v82
	v_add_f32_e32 v15, v15, v11
	v_fmac_f32_e32 v23, v14, v107
	v_mul_f32_e32 v77, 0xbf167918, v81
	v_fmac_f32_e32 v82, 0x3f737871, v85
	v_add_f32_e32 v15, v15, v24
	v_fmac_f32_e32 v77, 0x3f4f1bbd, v21
	v_mul_f32_e32 v89, 0xbf737871, v17
	v_add_f32_e32 v19, v73, v82
	v_mul_f32_e32 v85, 0xbe9e377a, v17
	v_sub_f32_e32 v73, v73, v82
	v_add_f32_e32 v82, v15, v23
	v_add_f32_e32 v15, v11, v24
	v_fma_f32 v14, v14, v108, -v12
	v_add_f32_e32 v78, v25, v30
	v_add_f32_e32 v80, v26, v77
	v_fmac_f32_e32 v89, 0xbe9e377a, v76
	v_add_f32_e32 v79, v29, v86
	v_mul_f32_e32 v91, 0x3f4f1bbd, v81
	v_fmac_f32_e32 v85, 0x3f737871, v76
	v_add_f32_e32 v17, v83, v87
	v_sub_f32_e32 v76, v25, v30
	v_sub_f32_e32 v30, v26, v77
	;; [unrolled: 1-line block ×4, first 2 shown]
	v_fma_f32 v83, -0.5, v15, v74
	v_add_f32_e32 v20, v27, v89
	v_fmac_f32_e32 v91, 0x3f167918, v21
	v_add_f32_e32 v21, v84, v85
	v_sub_f32_e32 v26, v27, v89
	v_sub_f32_e32 v27, v84, v85
	v_sub_f32_e32 v15, v5, v14
	v_mov_b32_e32 v84, v83
	v_fmac_f32_e32 v84, 0xbf737871, v15
	v_sub_f32_e32 v25, v9, v22
	v_sub_f32_e32 v85, v7, v11
	v_sub_f32_e32 v86, v23, v24
	v_fmac_f32_e32 v83, 0x3f737871, v15
	v_fmac_f32_e32 v84, 0xbf167918, v25
	v_add_f32_e32 v85, v85, v86
	v_fmac_f32_e32 v83, 0x3f167918, v25
	v_fmac_f32_e32 v84, 0x3e9e377a, v85
	;; [unrolled: 1-line block ×3, first 2 shown]
	v_add_f32_e32 v85, v7, v23
	v_fma_f32 v74, -0.5, v85, v74
	v_mov_b32_e32 v85, v74
	v_fmac_f32_e32 v85, 0x3f737871, v25
	v_fmac_f32_e32 v74, 0xbf737871, v25
	;; [unrolled: 1-line block ×4, first 2 shown]
	v_add_f32_e32 v15, v75, v5
	v_sub_f32_e32 v86, v11, v7
	v_sub_f32_e32 v87, v24, v23
	v_add_f32_e32 v15, v15, v9
	v_add_f32_e32 v86, v86, v87
	;; [unrolled: 1-line block ×3, first 2 shown]
	v_fmac_f32_e32 v85, 0x3e9e377a, v86
	v_fmac_f32_e32 v74, 0x3e9e377a, v86
	v_add_f32_e32 v86, v15, v14
	v_add_f32_e32 v15, v9, v22
	v_fma_f32 v87, -0.5, v15, v75
	v_sub_f32_e32 v7, v7, v23
	v_mov_b32_e32 v88, v87
	v_fmac_f32_e32 v88, 0x3f737871, v7
	v_sub_f32_e32 v11, v11, v24
	v_sub_f32_e32 v15, v5, v9
	;; [unrolled: 1-line block ×3, first 2 shown]
	v_fmac_f32_e32 v87, 0xbf737871, v7
	v_fmac_f32_e32 v88, 0x3f167918, v11
	v_add_f32_e32 v15, v15, v23
	v_fmac_f32_e32 v87, 0xbf167918, v11
	v_fmac_f32_e32 v88, 0x3e9e377a, v15
	;; [unrolled: 1-line block ×3, first 2 shown]
	v_add_f32_e32 v15, v5, v14
	v_fmac_f32_e32 v75, -0.5, v15
	v_mov_b32_e32 v89, v75
	v_fmac_f32_e32 v89, 0xbf737871, v11
	v_sub_f32_e32 v5, v9, v5
	v_sub_f32_e32 v9, v22, v14
	v_fmac_f32_e32 v75, 0x3f737871, v11
	v_fmac_f32_e32 v89, 0x3f167918, v7
	v_add_f32_e32 v5, v5, v9
	v_fmac_f32_e32 v75, 0xbf167918, v7
	v_fmac_f32_e32 v89, 0x3e9e377a, v5
	;; [unrolled: 1-line block ×3, first 2 shown]
	v_add_f32_e32 v5, v0, v3
	v_mul_f32_e32 v13, v175, v112
	v_add_f32_e32 v5, v5, v6
	v_fmac_f32_e32 v13, v174, v111
	v_add_f32_e32 v5, v5, v10
	v_mul_f32_e32 v12, v175, v111
	v_add_f32_e32 v7, v5, v13
	v_add_f32_e32 v5, v6, v10
	v_fma_f32 v12, v174, v112, -v12
	v_fma_f32 v5, -0.5, v5, v0
	v_sub_f32_e32 v9, v2, v12
	v_mov_b32_e32 v11, v5
	v_fmac_f32_e32 v11, 0xbf737871, v9
	v_sub_f32_e32 v14, v4, v8
	v_sub_f32_e32 v15, v3, v6
	;; [unrolled: 1-line block ×3, first 2 shown]
	v_fmac_f32_e32 v5, 0x3f737871, v9
	v_fmac_f32_e32 v11, 0xbf167918, v14
	v_add_f32_e32 v15, v15, v22
	v_fmac_f32_e32 v5, 0x3f167918, v14
	v_fmac_f32_e32 v11, 0x3e9e377a, v15
	;; [unrolled: 1-line block ×3, first 2 shown]
	v_add_f32_e32 v15, v3, v13
	v_fmac_f32_e32 v0, -0.5, v15
	v_mov_b32_e32 v15, v0
	v_fmac_f32_e32 v15, 0x3f737871, v14
	v_fmac_f32_e32 v0, 0xbf737871, v14
	v_add_f32_e32 v14, v4, v8
	v_fma_f32 v90, -0.5, v14, v1
	v_sub_f32_e32 v22, v6, v3
	v_sub_f32_e32 v23, v10, v13
	;; [unrolled: 1-line block ×3, first 2 shown]
	v_mov_b32_e32 v13, v90
	v_fmac_f32_e32 v13, 0x3f737871, v3
	v_sub_f32_e32 v6, v6, v10
	v_sub_f32_e32 v10, v2, v4
	;; [unrolled: 1-line block ×3, first 2 shown]
	v_fmac_f32_e32 v90, 0xbf737871, v3
	v_fmac_f32_e32 v13, 0x3f167918, v6
	v_add_f32_e32 v10, v10, v14
	v_fmac_f32_e32 v90, 0xbf167918, v6
	v_fmac_f32_e32 v13, 0x3e9e377a, v10
	;; [unrolled: 1-line block ×3, first 2 shown]
	v_add_f32_e32 v10, v2, v12
	v_fmac_f32_e32 v15, 0xbf167918, v9
	v_fmac_f32_e32 v0, 0x3f167918, v9
	v_add_f32_e32 v9, v1, v2
	v_fmac_f32_e32 v1, -0.5, v10
	v_mov_b32_e32 v10, v1
	v_add_f32_e32 v9, v9, v4
	v_fmac_f32_e32 v10, 0xbf737871, v6
	v_sub_f32_e32 v2, v4, v2
	v_sub_f32_e32 v4, v8, v12
	v_fmac_f32_e32 v1, 0x3f737871, v6
	v_fmac_f32_e32 v10, 0x3f167918, v3
	v_add_f32_e32 v2, v2, v4
	v_fmac_f32_e32 v1, 0xbf167918, v3
	v_add_f32_e32 v22, v22, v23
	v_fmac_f32_e32 v10, 0x3e9e377a, v2
	v_fmac_f32_e32 v1, 0x3e9e377a, v2
	v_add_f32_e32 v81, v31, v91
	v_sub_f32_e32 v31, v31, v91
	v_fmac_f32_e32 v15, 0x3e9e377a, v22
	v_fmac_f32_e32 v0, 0x3e9e377a, v22
	v_add_f32_e32 v9, v9, v8
	v_mul_f32_e32 v2, 0xbf167918, v13
	v_mul_f32_e32 v3, 0xbf737871, v10
	;; [unrolled: 1-line block ×8, first 2 shown]
	v_add_f32_e32 v9, v9, v12
	v_fmac_f32_e32 v2, 0x3f4f1bbd, v11
	v_fmac_f32_e32 v3, 0x3e9e377a, v15
	;; [unrolled: 1-line block ×8, first 2 shown]
	v_add_f32_e32 v22, v82, v7
	v_add_f32_e32 v24, v84, v2
	;; [unrolled: 1-line block ×10, first 2 shown]
	v_sub_f32_e32 v10, v82, v7
	v_sub_f32_e32 v6, v84, v2
	;; [unrolled: 1-line block ×10, first 2 shown]
	s_barrier
	ds_write2_b64 v232, v[78:79], v[80:81] offset1:10
	ds_write2_b64 v232, v[18:19], v[20:21] offset0:20 offset1:30
	ds_write2_b64 v232, v[16:17], v[76:77] offset0:40 offset1:50
	;; [unrolled: 1-line block ×4, first 2 shown]
	ds_write2_b64 v233, v[22:23], v[24:25] offset1:10
	ds_write2_b64 v233, v[12:13], v[14:15] offset0:20 offset1:30
	ds_write2_b64 v233, v[4:5], v[10:11] offset0:40 offset1:50
	;; [unrolled: 1-line block ×4, first 2 shown]
	s_waitcnt lgkmcnt(0)
	s_barrier
	ds_read2_b64 v[0:3], v221 offset1:160
	ds_read2_b64 v[4:7], v229 offset1:160
	ds_read2_b64 v[8:11], v226 offset0:64 offset1:224
	ds_read2_b64 v[12:15], v224 offset0:64 offset1:224
	;; [unrolled: 1-line block ×3, first 2 shown]
	ds_read2_b64 v[20:23], v223 offset1:160
	ds_read2_b64 v[24:27], v230 offset0:64 offset1:224
	ds_read2_b64 v[28:31], v225 offset1:160
	ds_read2_b64 v[72:75], v227 offset1:160
	ds_read2_b64 v[76:79], v222 offset0:64 offset1:224
	s_waitcnt lgkmcnt(8)
	v_mul_f32_e32 v80, v33, v7
	v_fmac_f32_e32 v80, v32, v6
	v_mul_f32_e32 v6, v33, v6
	v_fma_f32 v6, v32, v7, -v6
	s_waitcnt lgkmcnt(7)
	v_mul_f32_e32 v7, v35, v9
	v_fmac_f32_e32 v7, v34, v8
	v_mul_f32_e32 v8, v35, v8
	v_fma_f32 v8, v34, v9, -v8
	;; [unrolled: 5-line block ×4, first 2 shown]
	v_mul_f32_e32 v17, v39, v11
	v_fmac_f32_e32 v17, v38, v10
	v_mul_f32_e32 v10, v39, v10
	v_fma_f32 v32, v38, v11, -v10
	s_waitcnt lgkmcnt(4)
	v_mul_f32_e32 v33, v177, v21
	v_mul_f32_e32 v10, v177, v20
	v_fmac_f32_e32 v33, v176, v20
	v_fma_f32 v20, v176, v21, -v10
	v_mul_f32_e32 v21, v41, v19
	v_mul_f32_e32 v10, v41, v18
	v_fmac_f32_e32 v21, v40, v18
	v_fma_f32 v18, v40, v19, -v10
	s_waitcnt lgkmcnt(2)
	v_mul_f32_e32 v19, v43, v29
	v_mul_f32_e32 v10, v43, v28
	v_fmac_f32_e32 v19, v42, v28
	v_fma_f32 v28, v42, v29, -v10
	v_mul_f32_e32 v29, v181, v23
	v_mul_f32_e32 v10, v181, v22
	v_fmac_f32_e32 v29, v180, v22
	v_fma_f32 v22, v180, v23, -v10
	s_waitcnt lgkmcnt(1)
	v_mul_f32_e32 v10, v45, v72
	v_fma_f32 v35, v44, v73, -v10
	v_mul_f32_e32 v36, v47, v31
	v_mul_f32_e32 v10, v47, v30
	v_fmac_f32_e32 v36, v46, v30
	v_fma_f32 v30, v46, v31, -v10
	s_waitcnt lgkmcnt(0)
	v_mul_f32_e32 v10, v183, v76
	v_fma_f32 v37, v182, v77, -v10
	v_mul_f32_e32 v10, v49, v74
	v_fma_f32 v39, v48, v75, -v10
	v_mul_f32_e32 v10, v51, v12
	v_mul_f32_e32 v40, v51, v13
	v_fma_f32 v41, v50, v13, -v10
	v_mul_f32_e32 v10, v185, v78
	v_fmac_f32_e32 v40, v50, v12
	v_fma_f32 v43, v184, v79, -v10
	v_sub_f32_e32 v10, v0, v7
	v_sub_f32_e32 v11, v1, v8
	v_sub_f32_e32 v9, v80, v9
	v_sub_f32_e32 v12, v6, v14
	v_fma_f32 v7, v0, 2.0, -v10
	v_fma_f32 v8, v1, 2.0, -v11
	;; [unrolled: 1-line block ×4, first 2 shown]
	v_sub_f32_e32 v0, v7, v0
	v_sub_f32_e32 v1, v8, v1
	;; [unrolled: 1-line block ×5, first 2 shown]
	v_fma_f32 v6, v7, 2.0, -v0
	v_fma_f32 v7, v8, 2.0, -v1
	v_add_f32_e32 v8, v10, v12
	v_fma_f32 v12, v2, 2.0, -v17
	v_sub_f32_e32 v14, v16, v20
	v_fma_f32 v2, v15, 2.0, -v32
	v_sub_f32_e32 v15, v23, v32
	v_sub_f32_e32 v32, v24, v19
	v_fma_f32 v13, v3, 2.0, -v23
	v_fma_f32 v3, v16, 2.0, -v14
	v_add_f32_e32 v14, v17, v14
	v_sub_f32_e32 v28, v25, v28
	v_fma_f32 v20, v24, 2.0, -v32
	v_sub_f32_e32 v24, v21, v29
	v_sub_f32_e32 v22, v18, v22
	v_mul_f32_e32 v34, v45, v73
	v_mul_f32_e32 v31, v183, v77
	;; [unrolled: 1-line block ×4, first 2 shown]
	v_fma_f32 v16, v17, 2.0, -v14
	v_fma_f32 v17, v23, 2.0, -v15
	;; [unrolled: 1-line block ×5, first 2 shown]
	v_fmac_f32_e32 v34, v44, v72
	v_fmac_f32_e32 v31, v182, v76
	;; [unrolled: 1-line block ×4, first 2 shown]
	v_sub_f32_e32 v18, v20, v19
	v_sub_f32_e32 v19, v23, v21
	v_add_f32_e32 v22, v32, v22
	v_fma_f32 v21, v23, 2.0, -v19
	v_sub_f32_e32 v23, v28, v24
	v_fma_f32 v24, v32, 2.0, -v22
	v_sub_f32_e32 v32, v26, v36
	v_sub_f32_e32 v33, v27, v30
	;; [unrolled: 1-line block ×8, first 2 shown]
	v_fma_f32 v25, v28, 2.0, -v23
	v_fma_f32 v28, v26, 2.0, -v32
	;; [unrolled: 1-line block ×9, first 2 shown]
	v_sub_f32_e32 v9, v11, v9
	v_sub_f32_e32 v2, v12, v2
	;; [unrolled: 1-line block ×5, first 2 shown]
	v_add_f32_e32 v30, v32, v30
	v_sub_f32_e32 v31, v33, v31
	v_sub_f32_e32 v4, v34, v4
	;; [unrolled: 1-line block ×3, first 2 shown]
	v_add_f32_e32 v36, v40, v36
	v_sub_f32_e32 v37, v41, v37
	v_fma_f32 v10, v10, 2.0, -v8
	v_fma_f32 v11, v11, 2.0, -v9
	;; [unrolled: 1-line block ×13, first 2 shown]
	s_barrier
	ds_write2_b64 v235, v[6:7], v[10:11] offset1:100
	ds_write2_b64 v237, v[0:1], v[8:9] offset0:72 offset1:172
	ds_write2_b64 v236, v[12:13], v[16:17] offset1:100
	ds_write2_b64 v239, v[2:3], v[14:15] offset0:72 offset1:172
	;; [unrolled: 2-line block ×5, first 2 shown]
	s_waitcnt lgkmcnt(0)
	s_barrier
	ds_read2_b64 v[0:3], v221 offset1:160
	ds_read2_b64 v[4:7], v229 offset1:160
	ds_read2_b64 v[8:11], v226 offset0:64 offset1:224
	ds_read2_b64 v[12:15], v224 offset0:64 offset1:224
	;; [unrolled: 1-line block ×3, first 2 shown]
	ds_read2_b64 v[20:23], v223 offset1:160
	ds_read2_b64 v[24:27], v230 offset0:64 offset1:224
	ds_read2_b64 v[28:31], v225 offset1:160
	ds_read2_b64 v[32:35], v227 offset1:160
	ds_read2_b64 v[36:39], v222 offset0:64 offset1:224
	s_waitcnt lgkmcnt(8)
	v_mul_f32_e32 v40, v53, v7
	v_fmac_f32_e32 v40, v52, v6
	v_mul_f32_e32 v6, v53, v6
	v_fma_f32 v6, v52, v7, -v6
	s_waitcnt lgkmcnt(7)
	v_mul_f32_e32 v7, v55, v9
	v_fmac_f32_e32 v7, v54, v8
	v_mul_f32_e32 v8, v55, v8
	v_fma_f32 v8, v54, v9, -v8
	;; [unrolled: 5-line block ×4, first 2 shown]
	v_mul_f32_e32 v17, v59, v11
	v_fmac_f32_e32 v17, v58, v10
	v_mul_f32_e32 v10, v59, v10
	v_fma_f32 v41, v58, v11, -v10
	s_waitcnt lgkmcnt(4)
	v_mul_f32_e32 v42, v187, v21
	v_mul_f32_e32 v10, v187, v20
	v_fmac_f32_e32 v42, v186, v20
	v_fma_f32 v20, v186, v21, -v10
	v_mul_f32_e32 v21, v61, v19
	v_mul_f32_e32 v10, v61, v18
	v_fmac_f32_e32 v21, v60, v18
	v_fma_f32 v18, v60, v19, -v10
	s_waitcnt lgkmcnt(2)
	v_mul_f32_e32 v19, v63, v29
	v_mul_f32_e32 v10, v63, v28
	v_fmac_f32_e32 v19, v62, v28
	v_fma_f32 v28, v62, v29, -v10
	v_mul_f32_e32 v29, v191, v23
	v_mul_f32_e32 v10, v191, v22
	v_fmac_f32_e32 v29, v190, v22
	;; [unrolled: 9-line block ×4, first 2 shown]
	v_fma_f32 v34, v68, v35, -v10
	v_mul_f32_e32 v10, v71, v12
	v_mul_f32_e32 v35, v71, v13
	v_fma_f32 v44, v70, v13, -v10
	v_mul_f32_e32 v45, v195, v39
	v_mul_f32_e32 v10, v195, v38
	v_fmac_f32_e32 v35, v70, v12
	v_fmac_f32_e32 v45, v194, v38
	v_fma_f32 v38, v194, v39, -v10
	v_sub_f32_e32 v10, v0, v7
	v_sub_f32_e32 v11, v1, v8
	;; [unrolled: 1-line block ×4, first 2 shown]
	v_fma_f32 v7, v0, 2.0, -v10
	v_fma_f32 v8, v1, 2.0, -v11
	;; [unrolled: 1-line block ×4, first 2 shown]
	v_sub_f32_e32 v0, v7, v0
	v_sub_f32_e32 v1, v8, v1
	;; [unrolled: 1-line block ×5, first 2 shown]
	v_fma_f32 v6, v7, 2.0, -v0
	v_fma_f32 v7, v8, 2.0, -v1
	v_add_f32_e32 v8, v10, v12
	v_fma_f32 v12, v2, 2.0, -v17
	v_sub_f32_e32 v14, v16, v20
	v_fma_f32 v2, v15, 2.0, -v39
	v_sub_f32_e32 v15, v23, v39
	v_sub_f32_e32 v39, v24, v19
	v_fma_f32 v13, v3, 2.0, -v23
	v_fma_f32 v3, v16, 2.0, -v14
	v_add_f32_e32 v14, v17, v14
	v_sub_f32_e32 v28, v25, v28
	v_fma_f32 v20, v24, 2.0, -v39
	v_sub_f32_e32 v24, v21, v29
	v_sub_f32_e32 v22, v18, v22
	v_fma_f32 v16, v17, 2.0, -v14
	v_fma_f32 v17, v23, 2.0, -v15
	;; [unrolled: 1-line block ×5, first 2 shown]
	v_sub_f32_e32 v18, v20, v19
	v_sub_f32_e32 v19, v23, v21
	v_add_f32_e32 v22, v39, v22
	v_fma_f32 v21, v23, 2.0, -v19
	v_sub_f32_e32 v23, v28, v24
	v_fma_f32 v24, v39, 2.0, -v22
	v_sub_f32_e32 v33, v26, v33
	v_sub_f32_e32 v39, v27, v30
	;; [unrolled: 1-line block ×4, first 2 shown]
	v_fma_f32 v25, v28, 2.0, -v23
	v_fma_f32 v28, v26, 2.0, -v33
	;; [unrolled: 1-line block ×5, first 2 shown]
	v_add_f32_e32 v30, v33, v30
	v_sub_f32_e32 v31, v39, v31
	v_fma_f32 v32, v33, 2.0, -v30
	v_fma_f32 v33, v39, 2.0, -v31
	v_sub_f32_e32 v39, v4, v35
	v_sub_f32_e32 v40, v5, v44
	;; [unrolled: 1-line block ×4, first 2 shown]
	v_fma_f32 v35, v4, 2.0, -v39
	v_fma_f32 v36, v5, 2.0, -v40
	;; [unrolled: 1-line block ×4, first 2 shown]
	v_sub_f32_e32 v4, v35, v4
	v_sub_f32_e32 v5, v36, v5
	;; [unrolled: 1-line block ×7, first 2 shown]
	v_fma_f32 v34, v35, 2.0, -v4
	v_fma_f32 v35, v36, 2.0, -v5
	v_add_f32_e32 v36, v39, v38
	v_sub_f32_e32 v37, v40, v41
	v_fma_f32 v10, v10, 2.0, -v8
	v_fma_f32 v11, v11, 2.0, -v9
	;; [unrolled: 1-line block ×9, first 2 shown]
	s_barrier
	ds_write_b64 v221, v[10:11] offset:3200
	ds_write_b64 v221, v[0:1] offset:6400
	;; [unrolled: 1-line block ×3, first 2 shown]
	ds_write2_b64 v221, v[6:7], v[12:13] offset1:160
	ds_write_b64 v221, v[16:17] offset:4480
	ds_write_b64 v221, v[2:3] offset:7680
	;; [unrolled: 1-line block ×3, first 2 shown]
	ds_write_b64 v246, v[20:21]
	ds_write_b64 v246, v[24:25] offset:3200
	ds_write_b64 v246, v[18:19] offset:6400
	;; [unrolled: 1-line block ×3, first 2 shown]
	ds_write2_b64 v247, v[28:29], v[34:35] offset0:16 offset1:176
	ds_write2_b64 v245, v[32:33], v[38:39] offset0:32 offset1:192
	ds_write2_b64 v248, v[26:27], v[4:5] offset0:48 offset1:208
	ds_write2_b64 v222, v[30:31], v[36:37] offset0:64 offset1:224
	s_waitcnt lgkmcnt(0)
	s_barrier
	ds_read2_b64 v[0:3], v221 offset1:160
	ds_read2_b64 v[4:7], v226 offset0:64 offset1:224
	ds_read2_b64 v[8:11], v230 offset0:64 offset1:224
	ds_read2_b64 v[12:15], v225 offset1:160
	ds_read2_b64 v[16:19], v229 offset1:160
	ds_read2_b64 v[20:23], v224 offset0:64 offset1:224
	ds_read2_b64 v[24:27], v228 offset0:64 offset1:224
	ds_read2_b64 v[28:31], v223 offset1:160
	ds_read2_b64 v[32:35], v227 offset1:160
	ds_read2_b64 v[36:39], v222 offset0:64 offset1:224
	s_waitcnt lgkmcnt(8)
	v_mul_f32_e32 v40, v197, v5
	v_fmac_f32_e32 v40, v196, v4
	v_mul_f32_e32 v4, v197, v4
	v_fma_f32 v5, v196, v5, -v4
	v_mul_f32_e32 v4, v199, v6
	v_mul_f32_e32 v41, v199, v7
	v_fma_f32 v7, v198, v7, -v4
	s_waitcnt lgkmcnt(6)
	v_mul_f32_e32 v4, v201, v12
	v_mul_f32_e32 v42, v201, v13
	v_fma_f32 v13, v200, v13, -v4
	v_mul_f32_e32 v4, v203, v14
	v_mul_f32_e32 v43, v203, v15
	v_fma_f32 v15, v202, v15, -v4
	s_waitcnt lgkmcnt(4)
	v_mul_f32_e32 v4, v205, v20
	;; [unrolled: 7-line block ×4, first 2 shown]
	v_fmac_f32_e32 v41, v198, v6
	v_mul_f32_e32 v48, v213, v37
	v_fma_f32 v37, v212, v37, -v4
	v_mul_f32_e32 v49, v215, v39
	v_mul_f32_e32 v4, v215, v38
	v_fmac_f32_e32 v42, v200, v12
	v_fmac_f32_e32 v43, v202, v14
	;; [unrolled: 1-line block ×8, first 2 shown]
	v_fma_f32 v39, v214, v39, -v4
	v_sub_f32_e32 v4, v0, v40
	v_sub_f32_e32 v5, v1, v5
	;; [unrolled: 1-line block ×4, first 2 shown]
	v_fma_f32 v0, v0, 2.0, -v4
	v_fma_f32 v1, v1, 2.0, -v5
	;; [unrolled: 1-line block ×4, first 2 shown]
	v_sub_f32_e32 v12, v8, v42
	v_sub_f32_e32 v13, v9, v13
	;; [unrolled: 1-line block ×16, first 2 shown]
	v_fma_f32 v8, v8, 2.0, -v12
	v_fma_f32 v9, v9, 2.0, -v13
	;; [unrolled: 1-line block ×16, first 2 shown]
	ds_write_b64 v221, v[4:5] offset:12800
	ds_write2_b64 v221, v[0:1], v[2:3] offset1:160
	ds_write2_b64 v249, v[6:7], v[12:13] offset0:32 offset1:192
	ds_write2_b64 v230, v[8:9], v[10:11] offset0:64 offset1:224
	ds_write2_b64 v245, v[14:15], v[20:21] offset0:32 offset1:192
	ds_write2_b64 v229, v[16:17], v[18:19] offset1:160
	ds_write2_b64 v250, v[22:23], v[28:29] offset0:32 offset1:192
	ds_write2_b64 v228, v[24:25], v[26:27] offset0:64 offset1:224
	;; [unrolled: 1-line block ×3, first 2 shown]
	ds_write2_b64 v227, v[32:33], v[34:35] offset1:160
	ds_write_b64 v221, v[38:39] offset:24320
	s_waitcnt lgkmcnt(0)
	s_barrier
	ds_read2_b64 v[0:3], v221 offset1:160
	v_mad_u64_u32 v[6:7], s[4:5], s0, v220, 0
	v_mov_b32_e32 v8, s13
	ds_read2_b64 v[16:19], v227 offset1:160
	s_waitcnt lgkmcnt(1)
	v_mul_f32_e32 v4, v171, v1
	v_fmac_f32_e32 v4, v170, v0
	v_mul_f32_e32 v0, v171, v0
	v_fma_f32 v0, v170, v1, -v0
	v_cvt_f64_f32_e32 v[4:5], v4
	v_cvt_f64_f32_e32 v[0:1], v0
	ds_read2_b64 v[20:23], v226 offset0:64 offset1:224
	ds_read2_b64 v[24:27], v225 offset1:160
	v_mul_f64 v[4:5], v[4:5], s[2:3]
	v_mul_f64 v[0:1], v[0:1], s[2:3]
	ds_read2_b64 v[28:31], v224 offset0:64 offset1:224
	ds_read2_b64 v[32:35], v223 offset1:160
	ds_read2_b64 v[36:39], v222 offset0:64 offset1:224
	v_cvt_f32_f64_e32 v4, v[4:5]
	v_cvt_f32_f64_e32 v5, v[0:1]
	v_mov_b32_e32 v0, v7
	v_mad_u64_u32 v[0:1], s[4:5], s1, v220, v[0:1]
	s_mul_i32 s4, s1, 0xa00
	s_mul_hi_u32 s5, s0, 0xa00
	v_mov_b32_e32 v7, v0
	v_lshlrev_b64 v[0:1], 3, v[152:153]
	v_lshlrev_b64 v[6:7], 3, v[6:7]
	v_add_co_u32_e32 v0, vcc, s12, v0
	v_addc_co_u32_e32 v1, vcc, v8, v1, vcc
	v_add_co_u32_e32 v8, vcc, v0, v6
	v_addc_co_u32_e32 v9, vcc, v1, v7, vcc
	global_store_dwordx2 v[8:9], v[4:5], off
	ds_read2_b64 v[4:7], v230 offset0:64 offset1:224
	s_add_i32 s4, s5, s4
	s_mul_i32 s5, s0, 0xa00
	s_waitcnt lgkmcnt(0)
	v_mul_f32_e32 v10, v169, v5
	v_fmac_f32_e32 v10, v168, v4
	v_mul_f32_e32 v4, v169, v4
	v_fma_f32 v4, v168, v5, -v4
	v_cvt_f64_f32_e32 v[10:11], v10
	v_cvt_f64_f32_e32 v[4:5], v4
	v_mul_f64 v[10:11], v[10:11], s[2:3]
	v_mul_f64 v[4:5], v[4:5], s[2:3]
	v_cvt_f32_f64_e32 v10, v[10:11]
	v_cvt_f32_f64_e32 v11, v[4:5]
	v_add_co_u32_e32 v4, vcc, s5, v8
	v_mov_b32_e32 v5, s4
	v_addc_co_u32_e32 v5, vcc, v9, v5, vcc
	global_store_dwordx2 v[4:5], v[10:11], off
	ds_read2_b64 v[8:11], v229 offset1:160
	v_add_co_u32_e32 v4, vcc, s5, v4
	s_waitcnt lgkmcnt(0)
	v_mul_f32_e32 v12, v163, v9
	v_fmac_f32_e32 v12, v162, v8
	v_mul_f32_e32 v8, v163, v8
	v_fma_f32 v8, v162, v9, -v8
	v_cvt_f64_f32_e32 v[12:13], v12
	v_cvt_f64_f32_e32 v[8:9], v8
	v_mul_f64 v[12:13], v[12:13], s[2:3]
	v_mul_f64 v[8:9], v[8:9], s[2:3]
	v_cvt_f32_f64_e32 v12, v[12:13]
	v_cvt_f32_f64_e32 v13, v[8:9]
	v_mov_b32_e32 v8, s4
	v_addc_co_u32_e32 v5, vcc, v5, v8, vcc
	global_store_dwordx2 v[4:5], v[12:13], off
	ds_read2_b64 v[12:15], v228 offset0:64 offset1:224
	v_add_co_u32_e32 v4, vcc, s5, v4
	s_waitcnt lgkmcnt(0)
	v_mul_f32_e32 v8, v157, v13
	v_fmac_f32_e32 v8, v156, v12
	v_cvt_f64_f32_e32 v[8:9], v8
	v_mul_f64 v[8:9], v[8:9], s[2:3]
	v_cvt_f32_f64_e32 v8, v[8:9]
	v_mul_f32_e32 v9, v157, v12
	v_fma_f32 v9, v156, v13, -v9
	v_cvt_f64_f32_e32 v[12:13], v9
	v_mul_f64 v[12:13], v[12:13], s[2:3]
	v_cvt_f32_f64_e32 v9, v[12:13]
	v_mov_b32_e32 v12, s4
	v_addc_co_u32_e32 v5, vcc, v5, v12, vcc
	global_store_dwordx2 v[4:5], v[8:9], off
	v_mul_f32_e32 v8, v145, v17
	v_fmac_f32_e32 v8, v144, v16
	v_cvt_f64_f32_e32 v[8:9], v8
	v_mad_u64_u32 v[4:5], s[6:7], s0, v216, v[4:5]
	v_mul_f64 v[8:9], v[8:9], s[2:3]
	v_cvt_f32_f64_e32 v8, v[8:9]
	v_mul_f32_e32 v9, v145, v16
	v_fma_f32 v9, v144, v17, -v9
	v_cvt_f64_f32_e32 v[12:13], v9
	v_mul_f64 v[12:13], v[12:13], s[2:3]
	v_cvt_f32_f64_e32 v9, v[12:13]
	v_mad_u64_u32 v[12:13], s[6:7], s0, v219, 0
	v_mad_u64_u32 v[16:17], s[6:7], s1, v219, v[13:14]
	s_mul_i32 s6, s1, 0x1400
	v_add_u32_e32 v5, s6, v5
	v_mov_b32_e32 v13, v16
	v_lshlrev_b64 v[12:13], 3, v[12:13]
	v_add_co_u32_e32 v12, vcc, v0, v12
	v_addc_co_u32_e32 v13, vcc, v1, v13, vcc
	global_store_dwordx2 v[12:13], v[8:9], off
	v_mul_f32_e32 v8, v147, v21
	v_fmac_f32_e32 v8, v146, v20
	v_cvt_f64_f32_e32 v[8:9], v8
	v_mul_f64 v[8:9], v[8:9], s[2:3]
	v_cvt_f32_f64_e32 v8, v[8:9]
	v_mul_f32_e32 v9, v147, v20
	v_fma_f32 v9, v146, v21, -v9
	v_cvt_f64_f32_e32 v[12:13], v9
	v_mul_f64 v[12:13], v[12:13], s[2:3]
	v_cvt_f32_f64_e32 v9, v[12:13]
	global_store_dwordx2 v[4:5], v[8:9], off
	v_mul_f32_e32 v8, v139, v25
	v_fmac_f32_e32 v8, v138, v24
	v_cvt_f64_f32_e32 v[8:9], v8
	v_add_co_u32_e32 v4, vcc, s5, v4
	v_mul_f64 v[8:9], v[8:9], s[2:3]
	v_cvt_f32_f64_e32 v8, v[8:9]
	v_mul_f32_e32 v9, v139, v24
	v_fma_f32 v9, v138, v25, -v9
	v_cvt_f64_f32_e32 v[12:13], v9
	v_mul_f64 v[12:13], v[12:13], s[2:3]
	v_cvt_f32_f64_e32 v9, v[12:13]
	v_mov_b32_e32 v12, s4
	v_addc_co_u32_e32 v5, vcc, v5, v12, vcc
	global_store_dwordx2 v[4:5], v[8:9], off
	v_mul_f32_e32 v8, v137, v29
	v_fmac_f32_e32 v8, v136, v28
	v_cvt_f64_f32_e32 v[8:9], v8
	v_add_co_u32_e32 v4, vcc, s5, v4
	v_mul_f64 v[8:9], v[8:9], s[2:3]
	v_cvt_f32_f64_e32 v8, v[8:9]
	v_mul_f32_e32 v9, v137, v28
	v_fma_f32 v9, v136, v29, -v9
	v_cvt_f64_f32_e32 v[12:13], v9
	v_mul_f64 v[12:13], v[12:13], s[2:3]
	v_cvt_f32_f64_e32 v9, v[12:13]
	v_mov_b32_e32 v12, s4
	v_addc_co_u32_e32 v5, vcc, v5, v12, vcc
	global_store_dwordx2 v[4:5], v[8:9], off
	v_mul_f32_e32 v8, v135, v33
	v_fmac_f32_e32 v8, v134, v32
	v_cvt_f64_f32_e32 v[8:9], v8
	v_mad_u64_u32 v[4:5], s[8:9], s0, v216, v[4:5]
	v_mul_f64 v[8:9], v[8:9], s[2:3]
	v_add_u32_e32 v5, s6, v5
	v_cvt_f32_f64_e32 v8, v[8:9]
	v_mul_f32_e32 v9, v135, v32
	v_fma_f32 v9, v134, v33, -v9
	v_cvt_f64_f32_e32 v[12:13], v9
	v_mul_f64 v[12:13], v[12:13], s[2:3]
	v_cvt_f32_f64_e32 v9, v[12:13]
	v_mad_u64_u32 v[12:13], s[8:9], s0, v218, 0
	v_mad_u64_u32 v[16:17], s[8:9], s1, v218, v[13:14]
	s_mulk_i32 s1, 0xab00
	v_mov_b32_e32 v13, v16
	v_lshlrev_b64 v[12:13], 3, v[12:13]
	v_add_co_u32_e32 v0, vcc, v0, v12
	v_addc_co_u32_e32 v1, vcc, v1, v13, vcc
	global_store_dwordx2 v[0:1], v[8:9], off
	v_mul_f32_e32 v0, v133, v37
	v_fmac_f32_e32 v0, v132, v36
	v_cvt_f64_f32_e32 v[0:1], v0
	v_mul_f64 v[0:1], v[0:1], s[2:3]
	v_cvt_f32_f64_e32 v0, v[0:1]
	v_mul_f32_e32 v1, v133, v36
	v_fma_f32 v1, v132, v37, -v1
	v_cvt_f64_f32_e32 v[8:9], v1
	v_mul_f64 v[8:9], v[8:9], s[2:3]
	v_cvt_f32_f64_e32 v1, v[8:9]
	global_store_dwordx2 v[4:5], v[0:1], off
	v_mul_f32_e32 v0, v131, v3
	v_fmac_f32_e32 v0, v130, v2
	v_cvt_f64_f32_e32 v[0:1], v0
	v_mul_f64 v[0:1], v[0:1], s[2:3]
	v_cvt_f32_f64_e32 v0, v[0:1]
	v_mul_f32_e32 v1, v131, v2
	v_fma_f32 v1, v130, v3, -v1
	v_cvt_f64_f32_e32 v[1:2], v1
	v_mul_f64 v[1:2], v[1:2], s[2:3]
	v_cvt_f32_f64_e32 v1, v[1:2]
	v_mad_u64_u32 v[2:3], s[6:7], s0, v217, v[4:5]
	s_sub_i32 s0, s1, s0
	v_add_u32_e32 v3, s0, v3
	global_store_dwordx2 v[2:3], v[0:1], off
	v_mul_f32_e32 v0, v143, v7
	v_fmac_f32_e32 v0, v142, v6
	v_cvt_f64_f32_e32 v[0:1], v0
	v_add_co_u32_e32 v2, vcc, s5, v2
	v_mul_f64 v[0:1], v[0:1], s[2:3]
	v_cvt_f32_f64_e32 v0, v[0:1]
	v_mul_f32_e32 v1, v143, v6
	v_fma_f32 v1, v142, v7, -v1
	v_cvt_f64_f32_e32 v[4:5], v1
	v_mul_f64 v[4:5], v[4:5], s[2:3]
	v_cvt_f32_f64_e32 v1, v[4:5]
	v_mov_b32_e32 v4, s4
	v_addc_co_u32_e32 v3, vcc, v3, v4, vcc
	global_store_dwordx2 v[2:3], v[0:1], off
	v_mul_f32_e32 v0, v141, v11
	v_fmac_f32_e32 v0, v140, v10
	v_cvt_f64_f32_e32 v[0:1], v0
	v_add_co_u32_e32 v2, vcc, s5, v2
	v_mul_f64 v[0:1], v[0:1], s[2:3]
	v_cvt_f32_f64_e32 v0, v[0:1]
	v_mul_f32_e32 v1, v141, v10
	v_fma_f32 v1, v140, v11, -v1
	v_cvt_f64_f32_e32 v[4:5], v1
	v_mul_f64 v[4:5], v[4:5], s[2:3]
	v_cvt_f32_f64_e32 v1, v[4:5]
	v_mov_b32_e32 v4, s4
	v_addc_co_u32_e32 v3, vcc, v3, v4, vcc
	;; [unrolled: 14-line block ×9, first 2 shown]
	global_store_dwordx2 v[2:3], v[0:1], off
.LBB0_2:
	s_endpgm
	.section	.rodata,"a",@progbits
	.p2align	6, 0x0
	.amdhsa_kernel bluestein_single_fwd_len3200_dim1_sp_op_CI_CI
		.amdhsa_group_segment_fixed_size 25600
		.amdhsa_private_segment_fixed_size 0
		.amdhsa_kernarg_size 104
		.amdhsa_user_sgpr_count 6
		.amdhsa_user_sgpr_private_segment_buffer 1
		.amdhsa_user_sgpr_dispatch_ptr 0
		.amdhsa_user_sgpr_queue_ptr 0
		.amdhsa_user_sgpr_kernarg_segment_ptr 1
		.amdhsa_user_sgpr_dispatch_id 0
		.amdhsa_user_sgpr_flat_scratch_init 0
		.amdhsa_user_sgpr_private_segment_size 0
		.amdhsa_uses_dynamic_stack 0
		.amdhsa_system_sgpr_private_segment_wavefront_offset 0
		.amdhsa_system_sgpr_workgroup_id_x 1
		.amdhsa_system_sgpr_workgroup_id_y 0
		.amdhsa_system_sgpr_workgroup_id_z 0
		.amdhsa_system_sgpr_workgroup_info 0
		.amdhsa_system_vgpr_workitem_id 0
		.amdhsa_next_free_vgpr 253
		.amdhsa_next_free_sgpr 24
		.amdhsa_reserve_vcc 1
		.amdhsa_reserve_flat_scratch 0
		.amdhsa_float_round_mode_32 0
		.amdhsa_float_round_mode_16_64 0
		.amdhsa_float_denorm_mode_32 3
		.amdhsa_float_denorm_mode_16_64 3
		.amdhsa_dx10_clamp 1
		.amdhsa_ieee_mode 1
		.amdhsa_fp16_overflow 0
		.amdhsa_exception_fp_ieee_invalid_op 0
		.amdhsa_exception_fp_denorm_src 0
		.amdhsa_exception_fp_ieee_div_zero 0
		.amdhsa_exception_fp_ieee_overflow 0
		.amdhsa_exception_fp_ieee_underflow 0
		.amdhsa_exception_fp_ieee_inexact 0
		.amdhsa_exception_int_div_zero 0
	.end_amdhsa_kernel
	.text
.Lfunc_end0:
	.size	bluestein_single_fwd_len3200_dim1_sp_op_CI_CI, .Lfunc_end0-bluestein_single_fwd_len3200_dim1_sp_op_CI_CI
                                        ; -- End function
	.section	.AMDGPU.csdata,"",@progbits
; Kernel info:
; codeLenInByte = 19416
; NumSgprs: 28
; NumVgprs: 253
; ScratchSize: 0
; MemoryBound: 0
; FloatMode: 240
; IeeeMode: 1
; LDSByteSize: 25600 bytes/workgroup (compile time only)
; SGPRBlocks: 3
; VGPRBlocks: 63
; NumSGPRsForWavesPerEU: 28
; NumVGPRsForWavesPerEU: 253
; Occupancy: 1
; WaveLimiterHint : 1
; COMPUTE_PGM_RSRC2:SCRATCH_EN: 0
; COMPUTE_PGM_RSRC2:USER_SGPR: 6
; COMPUTE_PGM_RSRC2:TRAP_HANDLER: 0
; COMPUTE_PGM_RSRC2:TGID_X_EN: 1
; COMPUTE_PGM_RSRC2:TGID_Y_EN: 0
; COMPUTE_PGM_RSRC2:TGID_Z_EN: 0
; COMPUTE_PGM_RSRC2:TIDIG_COMP_CNT: 0
	.type	__hip_cuid_4ec35ae96dc8a5e9,@object ; @__hip_cuid_4ec35ae96dc8a5e9
	.section	.bss,"aw",@nobits
	.globl	__hip_cuid_4ec35ae96dc8a5e9
__hip_cuid_4ec35ae96dc8a5e9:
	.byte	0                               ; 0x0
	.size	__hip_cuid_4ec35ae96dc8a5e9, 1

	.ident	"AMD clang version 19.0.0git (https://github.com/RadeonOpenCompute/llvm-project roc-6.4.0 25133 c7fe45cf4b819c5991fe208aaa96edf142730f1d)"
	.section	".note.GNU-stack","",@progbits
	.addrsig
	.addrsig_sym __hip_cuid_4ec35ae96dc8a5e9
	.amdgpu_metadata
---
amdhsa.kernels:
  - .args:
      - .actual_access:  read_only
        .address_space:  global
        .offset:         0
        .size:           8
        .value_kind:     global_buffer
      - .actual_access:  read_only
        .address_space:  global
        .offset:         8
        .size:           8
        .value_kind:     global_buffer
      - .actual_access:  read_only
        .address_space:  global
        .offset:         16
        .size:           8
        .value_kind:     global_buffer
      - .actual_access:  read_only
        .address_space:  global
        .offset:         24
        .size:           8
        .value_kind:     global_buffer
      - .actual_access:  read_only
        .address_space:  global
        .offset:         32
        .size:           8
        .value_kind:     global_buffer
      - .offset:         40
        .size:           8
        .value_kind:     by_value
      - .address_space:  global
        .offset:         48
        .size:           8
        .value_kind:     global_buffer
      - .address_space:  global
        .offset:         56
        .size:           8
        .value_kind:     global_buffer
      - .address_space:  global
        .offset:         64
        .size:           8
        .value_kind:     global_buffer
      - .address_space:  global
        .offset:         72
        .size:           8
        .value_kind:     global_buffer
      - .offset:         80
        .size:           4
        .value_kind:     by_value
      - .address_space:  global
        .offset:         88
        .size:           8
        .value_kind:     global_buffer
      - .address_space:  global
        .offset:         96
        .size:           8
        .value_kind:     global_buffer
    .group_segment_fixed_size: 25600
    .kernarg_segment_align: 8
    .kernarg_segment_size: 104
    .language:       OpenCL C
    .language_version:
      - 2
      - 0
    .max_flat_workgroup_size: 160
    .name:           bluestein_single_fwd_len3200_dim1_sp_op_CI_CI
    .private_segment_fixed_size: 0
    .sgpr_count:     28
    .sgpr_spill_count: 0
    .symbol:         bluestein_single_fwd_len3200_dim1_sp_op_CI_CI.kd
    .uniform_work_group_size: 1
    .uses_dynamic_stack: false
    .vgpr_count:     253
    .vgpr_spill_count: 0
    .wavefront_size: 64
amdhsa.target:   amdgcn-amd-amdhsa--gfx906
amdhsa.version:
  - 1
  - 2
...

	.end_amdgpu_metadata
